;; amdgpu-corpus repo=ROCm/rocFFT kind=compiled arch=gfx906 opt=O3
	.text
	.amdgcn_target "amdgcn-amd-amdhsa--gfx906"
	.amdhsa_code_object_version 6
	.protected	bluestein_single_back_len484_dim1_dp_op_CI_CI ; -- Begin function bluestein_single_back_len484_dim1_dp_op_CI_CI
	.globl	bluestein_single_back_len484_dim1_dp_op_CI_CI
	.p2align	8
	.type	bluestein_single_back_len484_dim1_dp_op_CI_CI,@function
bluestein_single_back_len484_dim1_dp_op_CI_CI: ; @bluestein_single_back_len484_dim1_dp_op_CI_CI
; %bb.0:
	s_load_dwordx4 s[12:15], s[4:5], 0x28
	v_mul_u32_u24_e32 v1, 0x5d2, v0
	v_add_u32_sdwa v162, s6, v1 dst_sel:DWORD dst_unused:UNUSED_PAD src0_sel:DWORD src1_sel:WORD_1
	v_mov_b32_e32 v163, 0
	s_waitcnt lgkmcnt(0)
	v_cmp_gt_u64_e32 vcc, s[12:13], v[162:163]
	s_and_saveexec_b64 s[0:1], vcc
	s_cbranch_execz .LBB0_15
; %bb.1:
	s_load_dwordx4 s[0:3], s[4:5], 0x18
	s_load_dwordx2 s[12:13], s[4:5], 0x0
	v_mov_b32_e32 v2, 44
	v_mul_lo_u16_sdwa v1, v1, v2 dst_sel:DWORD dst_unused:UNUSED_PAD src0_sel:WORD_1 src1_sel:DWORD
	v_sub_u16_e32 v164, v0, v1
	s_waitcnt lgkmcnt(0)
	s_load_dwordx4 s[8:11], s[0:1], 0x0
	v_lshlrev_b32_e32 v163, 4, v164
	global_load_dwordx4 v[8:11], v163, s[12:13]
	s_waitcnt lgkmcnt(0)
	v_mad_u64_u32 v[0:1], s[0:1], s10, v162, 0
	v_mad_u64_u32 v[2:3], s[0:1], s8, v164, 0
	s_mul_i32 s6, s9, 0x79
	s_mul_hi_u32 s7, s8, 0x79
	v_mad_u64_u32 v[4:5], s[0:1], s11, v162, v[1:2]
	s_add_i32 s7, s7, s6
	s_mul_i32 s6, s8, 0x79
	v_mad_u64_u32 v[5:6], s[0:1], s9, v164, v[3:4]
	v_mov_b32_e32 v1, v4
	v_lshlrev_b64 v[0:1], 4, v[0:1]
	v_mov_b32_e32 v6, s15
	v_mov_b32_e32 v3, v5
	v_add_co_u32_e32 v4, vcc, s14, v0
	v_addc_co_u32_e32 v5, vcc, v6, v1, vcc
	v_lshlrev_b64 v[0:1], 4, v[2:3]
	v_mov_b32_e32 v2, s13
	v_add_co_u32_e32 v0, vcc, v4, v0
	v_add_co_u32_e64 v160, s[0:1], s12, v163
	v_addc_co_u32_e32 v1, vcc, v5, v1, vcc
	v_addc_co_u32_e64 v161, vcc, 0, v2, s[0:1]
	s_lshl_b64 s[14:15], s[6:7], 4
	v_mov_b32_e32 v30, s15
	v_add_co_u32_e32 v2, vcc, s14, v0
	v_addc_co_u32_e32 v3, vcc, v1, v30, vcc
	v_add_co_u32_e32 v12, vcc, s14, v2
	v_addc_co_u32_e32 v13, vcc, v3, v30, vcc
	;; [unrolled: 2-line block ×3, first 2 shown]
	s_movk_i32 s6, 0x1000
	s_mul_hi_u32 s7, s8, 0xfffffec1
	global_load_dwordx4 v[36:39], v[0:1], off
	global_load_dwordx4 v[40:43], v[2:3], off
	global_load_dwordx4 v[4:7], v163, s[12:13] offset:1936
	v_add_co_u32_e32 v32, vcc, s6, v160
	s_mul_i32 s6, s9, 0xfffffec1
	s_sub_i32 s7, s7, s8
	global_load_dwordx4 v[0:3], v163, s[12:13] offset:3872
	v_addc_co_u32_e32 v33, vcc, 0, v161, vcc
	s_add_i32 s7, s7, s6
	s_mul_i32 s6, s8, 0xfffffec1
	global_load_dwordx4 v[44:47], v[12:13], off
	global_load_dwordx4 v[48:51], v[16:17], off
	s_lshl_b64 s[16:17], s[6:7], 4
	global_load_dwordx4 v[12:15], v[32:33], off offset:1712
	v_mov_b32_e32 v18, s17
	v_add_co_u32_e32 v20, vcc, s16, v16
	v_addc_co_u32_e32 v21, vcc, v17, v18, vcc
	v_add_co_u32_e32 v24, vcc, s14, v20
	v_addc_co_u32_e32 v25, vcc, v21, v30, vcc
	global_load_dwordx4 v[52:55], v[20:21], off
	global_load_dwordx4 v[16:19], v163, s[12:13] offset:704
	v_add_co_u32_e32 v28, vcc, s14, v24
	global_load_dwordx4 v[56:59], v[24:25], off
	global_load_dwordx4 v[20:23], v163, s[12:13] offset:2640
	v_addc_co_u32_e32 v29, vcc, v25, v30, vcc
	global_load_dwordx4 v[60:63], v[28:29], off
	global_load_dwordx4 v[24:27], v[32:33], off offset:480
	v_add_co_u32_e32 v34, vcc, s14, v28
	v_addc_co_u32_e32 v35, vcc, v29, v30, vcc
	global_load_dwordx4 v[28:31], v[32:33], off offset:2416
	global_load_dwordx4 v[64:67], v[34:35], off
	s_load_dwordx2 s[6:7], s[4:5], 0x38
	s_load_dwordx4 s[8:11], s[2:3], 0x0
	v_cmp_gt_u16_e32 vcc, 33, v164
	s_waitcnt vmcnt(14)
	v_mul_f64 v[68:69], v[38:39], v[10:11]
	v_mul_f64 v[70:71], v[36:37], v[10:11]
	s_waitcnt vmcnt(12)
	v_mul_f64 v[72:73], v[42:43], v[6:7]
	v_mul_f64 v[74:75], v[40:41], v[6:7]
	v_fma_f64 v[36:37], v[36:37], v[8:9], v[68:69]
	v_fma_f64 v[38:39], v[38:39], v[8:9], -v[70:71]
	v_fma_f64 v[40:41], v[40:41], v[4:5], v[72:73]
	s_waitcnt vmcnt(10)
	v_mul_f64 v[76:77], v[46:47], v[2:3]
	v_mul_f64 v[78:79], v[44:45], v[2:3]
	v_fma_f64 v[42:43], v[42:43], v[4:5], -v[74:75]
	s_waitcnt vmcnt(8)
	v_mul_f64 v[80:81], v[50:51], v[14:15]
	v_mul_f64 v[82:83], v[48:49], v[14:15]
	v_fma_f64 v[44:45], v[44:45], v[0:1], v[76:77]
	v_fma_f64 v[46:47], v[46:47], v[0:1], -v[78:79]
	v_fma_f64 v[48:49], v[48:49], v[12:13], v[80:81]
	v_fma_f64 v[50:51], v[50:51], v[12:13], -v[82:83]
	s_waitcnt vmcnt(6)
	v_mul_f64 v[84:85], v[54:55], v[18:19]
	v_mul_f64 v[68:69], v[52:53], v[18:19]
	s_waitcnt vmcnt(4)
	v_mul_f64 v[70:71], v[58:59], v[22:23]
	v_mul_f64 v[72:73], v[56:57], v[22:23]
	;; [unrolled: 3-line block ×3, first 2 shown]
	v_fma_f64 v[52:53], v[52:53], v[16:17], v[84:85]
	v_fma_f64 v[54:55], v[54:55], v[16:17], -v[68:69]
	s_waitcnt vmcnt(0)
	v_mul_f64 v[78:79], v[66:67], v[30:31]
	v_mul_f64 v[80:81], v[64:65], v[30:31]
	v_fma_f64 v[56:57], v[56:57], v[20:21], v[70:71]
	v_fma_f64 v[58:59], v[58:59], v[20:21], -v[72:73]
	v_fma_f64 v[60:61], v[60:61], v[24:25], v[74:75]
	v_fma_f64 v[62:63], v[62:63], v[24:25], -v[76:77]
	;; [unrolled: 2-line block ×3, first 2 shown]
	ds_write_b128 v163, v[36:39]
	ds_write_b128 v163, v[40:43] offset:1936
	ds_write_b128 v163, v[44:47] offset:3872
	;; [unrolled: 1-line block ×7, first 2 shown]
	s_and_saveexec_b64 s[18:19], vcc
	s_cbranch_execz .LBB0_3
; %bb.2:
	v_mov_b32_e32 v36, s17
	v_add_co_u32_e64 v38, s[2:3], s16, v34
	v_addc_co_u32_e64 v39, s[2:3], v35, v36, s[2:3]
	v_mov_b32_e32 v56, s15
	v_add_co_u32_e64 v50, s[2:3], s14, v38
	v_addc_co_u32_e64 v51, s[2:3], v39, v56, s[2:3]
	global_load_dwordx4 v[34:37], v[38:39], off
	v_add_co_u32_e64 v54, s[2:3], s14, v50
	global_load_dwordx4 v[38:41], v[50:51], off
	global_load_dwordx4 v[42:45], v[160:161], off offset:1408
	global_load_dwordx4 v[46:49], v[160:161], off offset:3344
	v_addc_co_u32_e64 v55, s[2:3], v51, v56, s[2:3]
	global_load_dwordx4 v[50:53], v[54:55], off
	v_add_co_u32_e64 v66, s[2:3], s14, v54
	v_addc_co_u32_e64 v67, s[2:3], v55, v56, s[2:3]
	global_load_dwordx4 v[54:57], v[32:33], off offset:1184
	global_load_dwordx4 v[58:61], v[32:33], off offset:3120
	global_load_dwordx4 v[62:65], v[66:67], off
	s_waitcnt vmcnt(5)
	v_mul_f64 v[32:33], v[36:37], v[44:45]
	v_mul_f64 v[44:45], v[34:35], v[44:45]
	s_waitcnt vmcnt(4)
	v_mul_f64 v[66:67], v[40:41], v[48:49]
	v_mul_f64 v[48:49], v[38:39], v[48:49]
	s_waitcnt vmcnt(2)
	v_mul_f64 v[68:69], v[52:53], v[56:57]
	v_mul_f64 v[56:57], v[50:51], v[56:57]
	s_waitcnt vmcnt(0)
	v_mul_f64 v[70:71], v[64:65], v[60:61]
	v_mul_f64 v[60:61], v[62:63], v[60:61]
	v_fma_f64 v[32:33], v[34:35], v[42:43], v[32:33]
	v_fma_f64 v[34:35], v[36:37], v[42:43], -v[44:45]
	v_fma_f64 v[36:37], v[38:39], v[46:47], v[66:67]
	v_fma_f64 v[38:39], v[40:41], v[46:47], -v[48:49]
	;; [unrolled: 2-line block ×4, first 2 shown]
	ds_write_b128 v163, v[32:35] offset:1408
	ds_write_b128 v163, v[36:39] offset:3344
	ds_write_b128 v163, v[40:43] offset:5280
	ds_write_b128 v163, v[44:47] offset:7216
.LBB0_3:
	s_or_b64 exec, exec, s[18:19]
	s_waitcnt lgkmcnt(0)
	; wave barrier
	s_waitcnt lgkmcnt(0)
	ds_read_b128 v[56:59], v163
	ds_read_b128 v[40:43], v163 offset:704
	ds_read_b128 v[60:63], v163 offset:1936
	;; [unrolled: 1-line block ×7, first 2 shown]
	s_load_dwordx2 s[28:29], s[4:5], 0x8
                                        ; implicit-def: $vgpr32_vgpr33
                                        ; implicit-def: $vgpr52_vgpr53
                                        ; implicit-def: $vgpr48_vgpr49
                                        ; implicit-def: $vgpr36_vgpr37
	s_and_saveexec_b64 s[2:3], vcc
	s_cbranch_execz .LBB0_5
; %bb.4:
	ds_read_b128 v[32:35], v163 offset:1408
	ds_read_b128 v[36:39], v163 offset:3344
	;; [unrolled: 1-line block ×4, first 2 shown]
.LBB0_5:
	s_or_b64 exec, exec, s[2:3]
	s_waitcnt lgkmcnt(0)
	v_add_f64 v[80:81], v[56:57], -v[76:77]
	v_add_f64 v[82:83], v[58:59], -v[78:79]
	;; [unrolled: 1-line block ×8, first 2 shown]
	v_fma_f64 v[56:57], v[56:57], 2.0, -v[80:81]
	v_fma_f64 v[58:59], v[58:59], 2.0, -v[82:83]
	;; [unrolled: 1-line block ×8, first 2 shown]
	v_add_f64 v[64:65], v[80:81], -v[74:75]
	v_add_f64 v[66:67], v[82:83], v[72:73]
	v_add_f64 v[60:61], v[56:57], -v[60:61]
	v_add_f64 v[62:63], v[58:59], -v[62:63]
	;; [unrolled: 1-line block ×9, first 2 shown]
	v_add_f64 v[78:79], v[86:87], v[78:79]
	v_fma_f64 v[68:69], v[56:57], 2.0, -v[60:61]
	v_fma_f64 v[70:71], v[58:59], 2.0, -v[62:63]
	;; [unrolled: 1-line block ×4, first 2 shown]
	v_add_f64 v[56:57], v[40:41], -v[46:47]
	v_add_f64 v[58:59], v[42:43], v[44:45]
	v_fma_f64 v[52:53], v[88:89], 2.0, -v[72:73]
	v_fma_f64 v[54:55], v[90:91], 2.0, -v[74:75]
	s_movk_i32 s2, 0x58
	v_fma_f64 v[80:81], v[84:85], 2.0, -v[76:77]
	v_fma_f64 v[82:83], v[86:87], 2.0, -v[78:79]
	v_add_co_u32_e64 v92, s[2:3], s2, v164
	v_lshlrev_b16_e32 v84, 2, v164
	v_lshlrev_b32_e32 v167, 6, v164
	v_lshlrev_b32_e32 v166, 4, v84
	;; [unrolled: 1-line block ×3, first 2 shown]
	s_waitcnt lgkmcnt(0)
	; wave barrier
	ds_write_b128 v166, v[68:71]
	ds_write_b128 v166, v[48:51] offset:16
	ds_write_b128 v166, v[60:63] offset:32
	;; [unrolled: 1-line block ×7, first 2 shown]
	s_and_saveexec_b64 s[2:3], vcc
	s_cbranch_execz .LBB0_7
; %bb.6:
	v_fma_f64 v[48:49], v[34:35], 2.0, -v[42:43]
	v_fma_f64 v[34:35], v[38:39], 2.0, -v[46:47]
	;; [unrolled: 1-line block ×6, first 2 shown]
	v_add_f64 v[34:35], v[48:49], -v[34:35]
	v_add_f64 v[32:33], v[46:47], -v[32:33]
	v_fma_f64 v[42:43], v[48:49], 2.0, -v[34:35]
	v_fma_f64 v[40:41], v[46:47], 2.0, -v[32:33]
	ds_write_b128 v165, v[36:39] offset:16
	ds_write_b128 v165, v[32:35] offset:32
	ds_write_b128 v165, v[40:43]
	ds_write_b128 v165, v[56:59] offset:48
.LBB0_7:
	s_or_b64 exec, exec, s[2:3]
	v_and_b32_e32 v88, 3, v164
	v_mul_u32_u24_e32 v32, 10, v88
	v_lshlrev_b32_e32 v76, 4, v32
	s_waitcnt lgkmcnt(0)
	; wave barrier
	s_waitcnt lgkmcnt(0)
	global_load_dwordx4 v[72:75], v76, s[28:29]
	global_load_dwordx4 v[68:71], v76, s[28:29] offset:16
	global_load_dwordx4 v[44:47], v76, s[28:29] offset:32
	;; [unrolled: 1-line block ×9, first 2 shown]
	ds_read_b128 v[76:79], v163 offset:1408
	ds_read_b128 v[80:83], v163 offset:2112
	;; [unrolled: 1-line block ×10, first 2 shown]
	ds_read_b128 v[117:120], v163
	s_mov_b32 s22, 0xf8bb580b
	s_mov_b32 s38, 0x8eee2c13
	;; [unrolled: 1-line block ×28, first 2 shown]
	s_waitcnt lgkmcnt(0)
	; wave barrier
	s_waitcnt lgkmcnt(0)
	s_movk_i32 s12, 0xa0
	s_waitcnt vmcnt(9)
	v_mul_f64 v[121:122], v[115:116], v[74:75]
	v_mul_f64 v[123:124], v[113:114], v[74:75]
	s_waitcnt vmcnt(8)
	v_mul_f64 v[125:126], v[78:79], v[70:71]
	v_mul_f64 v[127:128], v[76:77], v[70:71]
	s_waitcnt vmcnt(7)
	v_mul_f64 v[129:130], v[82:83], v[46:47]
	v_mul_f64 v[131:132], v[80:81], v[46:47]
	s_waitcnt vmcnt(6)
	v_mul_f64 v[133:134], v[86:87], v[38:39]
	v_mul_f64 v[135:136], v[84:85], v[38:39]
	s_waitcnt vmcnt(1)
	v_mul_f64 v[153:154], v[109:110], v[66:67]
	v_mul_f64 v[155:156], v[111:112], v[66:67]
	v_mul_f64 v[137:138], v[91:92], v[54:55]
	v_mul_f64 v[139:140], v[89:90], v[54:55]
	;; [unrolled: 1-line block ×8, first 2 shown]
	s_waitcnt vmcnt(0)
	v_mul_f64 v[157:158], v[107:108], v[62:63]
	v_mul_f64 v[168:169], v[105:106], v[62:63]
	v_fma_f64 v[113:114], v[113:114], v[72:73], -v[121:122]
	v_fma_f64 v[115:116], v[115:116], v[72:73], v[123:124]
	v_fma_f64 v[111:112], v[111:112], v[64:65], v[153:154]
	v_fma_f64 v[109:110], v[109:110], v[64:65], -v[155:156]
	v_fma_f64 v[76:77], v[76:77], v[68:69], -v[125:126]
	v_fma_f64 v[78:79], v[78:79], v[68:69], v[127:128]
	v_fma_f64 v[121:122], v[80:81], v[44:45], -v[129:130]
	v_fma_f64 v[123:124], v[82:83], v[44:45], v[131:132]
	;; [unrolled: 2-line block ×7, first 2 shown]
	v_fma_f64 v[97:98], v[107:108], v[60:61], v[168:169]
	v_fma_f64 v[99:100], v[105:106], v[60:61], -v[157:158]
	v_add_f64 v[101:102], v[115:116], -v[111:112]
	v_add_f64 v[103:104], v[113:114], -v[109:110]
	v_add_f64 v[105:106], v[113:114], v[109:110]
	v_add_f64 v[107:108], v[115:116], v[111:112]
	;; [unrolled: 1-line block ×4, first 2 shown]
	v_add_f64 v[129:130], v[78:79], -v[97:98]
	v_add_f64 v[131:132], v[78:79], v[97:98]
	v_add_f64 v[133:134], v[76:77], v[99:100]
	v_add_f64 v[135:136], v[76:77], -v[99:100]
	v_mul_f64 v[137:138], v[101:102], s[22:23]
	v_mul_f64 v[141:142], v[101:102], s[38:39]
	v_add_f64 v[76:77], v[113:114], v[76:77]
	v_add_f64 v[78:79], v[115:116], v[78:79]
	v_mul_f64 v[145:146], v[101:102], s[16:17]
	v_mul_f64 v[149:150], v[101:102], s[20:21]
	;; [unrolled: 1-line block ×6, first 2 shown]
	v_add_f64 v[76:77], v[76:77], v[121:122]
	v_add_f64 v[78:79], v[78:79], v[123:124]
	v_mul_f64 v[151:152], v[103:104], s[20:21]
	v_mul_f64 v[103:104], v[103:104], s[26:27]
	v_mul_f64 v[113:114], v[129:130], s[38:39]
	v_fma_f64 v[157:158], v[105:106], s[4:5], -v[137:138]
	v_fma_f64 v[137:138], v[105:106], s[4:5], v[137:138]
	v_fma_f64 v[168:169], v[105:106], s[2:3], -v[141:142]
	v_add_f64 v[76:77], v[76:77], v[125:126]
	v_add_f64 v[78:79], v[78:79], v[127:128]
	v_fma_f64 v[141:142], v[105:106], s[2:3], v[141:142]
	v_fma_f64 v[170:171], v[105:106], s[14:15], -v[145:146]
	v_fma_f64 v[145:146], v[105:106], s[14:15], v[145:146]
	v_fma_f64 v[172:173], v[105:106], s[18:19], -v[149:150]
	;; [unrolled: 2-line block ×3, first 2 shown]
	v_add_f64 v[76:77], v[76:77], v[80:81]
	v_add_f64 v[78:79], v[78:79], v[82:83]
	v_fma_f64 v[101:102], v[105:106], s[24:25], v[101:102]
	v_mul_f64 v[115:116], v[135:136], s[38:39]
	v_mul_f64 v[153:154], v[129:130], s[20:21]
	v_fma_f64 v[105:106], v[107:108], s[4:5], v[139:140]
	v_fma_f64 v[139:140], v[107:108], s[4:5], -v[139:140]
	v_fma_f64 v[176:177], v[107:108], s[2:3], v[143:144]
	v_add_f64 v[76:77], v[76:77], v[84:85]
	v_add_f64 v[78:79], v[78:79], v[86:87]
	v_fma_f64 v[143:144], v[107:108], s[2:3], -v[143:144]
	v_fma_f64 v[178:179], v[107:108], s[14:15], v[147:148]
	v_fma_f64 v[147:148], v[107:108], s[14:15], -v[147:148]
	v_fma_f64 v[180:181], v[107:108], s[18:19], v[151:152]
	;; [unrolled: 2-line block ×3, first 2 shown]
	v_add_f64 v[76:77], v[76:77], v[89:90]
	v_add_f64 v[78:79], v[78:79], v[91:92]
	v_fma_f64 v[103:104], v[107:108], s[24:25], -v[103:104]
	v_fma_f64 v[107:108], v[133:134], s[2:3], -v[113:114]
	v_fma_f64 v[113:114], v[133:134], s[2:3], v[113:114]
	v_add_f64 v[157:158], v[117:118], v[157:158]
	v_add_f64 v[137:138], v[117:118], v[137:138]
	;; [unrolled: 1-line block ×14, first 2 shown]
	v_mul_f64 v[117:118], v[129:130], s[40:41]
	v_mul_f64 v[155:156], v[135:136], s[20:21]
	v_add_f64 v[105:106], v[119:120], v[105:106]
	v_add_f64 v[139:140], v[119:120], v[139:140]
	;; [unrolled: 1-line block ×13, first 2 shown]
	v_fma_f64 v[109:110], v[131:132], s[2:3], -v[115:116]
	v_fma_f64 v[111:112], v[133:134], s[18:19], -v[153:154]
	v_add_f64 v[113:114], v[113:114], v[137:138]
	v_mul_f64 v[119:120], v[135:136], s[40:41]
	v_fma_f64 v[137:138], v[133:134], s[18:19], v[153:154]
	v_fma_f64 v[153:154], v[133:134], s[24:25], -v[117:118]
	v_mul_f64 v[157:158], v[135:136], s[34:35]
	v_fma_f64 v[184:185], v[131:132], s[2:3], v[115:116]
	v_fma_f64 v[115:116], v[131:132], s[18:19], v[155:156]
	v_add_f64 v[109:110], v[109:110], v[139:140]
	v_add_f64 v[111:112], v[111:112], v[168:169]
	v_fma_f64 v[139:140], v[131:132], s[18:19], -v[155:156]
	v_mul_f64 v[155:156], v[129:130], s[34:35]
	v_fma_f64 v[168:169], v[131:132], s[24:25], v[119:120]
	v_fma_f64 v[117:118], v[133:134], s[24:25], v[117:118]
	v_fma_f64 v[119:120], v[131:132], s[24:25], -v[119:120]
	v_add_f64 v[137:138], v[137:138], v[141:142]
	v_add_f64 v[141:142], v[153:154], v[170:171]
	v_fma_f64 v[153:154], v[131:132], s[14:15], v[157:158]
	v_add_f64 v[139:140], v[139:140], v[143:144]
	v_fma_f64 v[143:144], v[133:134], s[14:15], -v[155:156]
	v_mul_f64 v[129:130], v[129:130], s[30:31]
	v_add_f64 v[117:118], v[117:118], v[145:146]
	v_add_f64 v[119:120], v[119:120], v[147:148]
	v_add_f64 v[147:148], v[123:124], -v[95:96]
	v_fma_f64 v[155:156], v[133:134], s[14:15], v[155:156]
	v_add_f64 v[145:146], v[153:154], v[180:181]
	v_add_f64 v[153:154], v[121:122], -v[93:94]
	v_mul_f64 v[135:136], v[135:136], s[30:31]
	v_fma_f64 v[157:158], v[131:132], s[14:15], -v[157:158]
	v_fma_f64 v[170:171], v[133:134], s[4:5], -v[129:130]
	v_add_f64 v[93:94], v[121:122], v[93:94]
	v_add_f64 v[95:96], v[123:124], v[95:96]
	v_mul_f64 v[121:122], v[147:148], s[16:17]
	v_add_f64 v[149:150], v[155:156], v[149:150]
	v_mul_f64 v[123:124], v[153:154], s[16:17]
	v_fma_f64 v[129:130], v[133:134], s[4:5], v[129:130]
	v_mul_f64 v[155:156], v[147:148], s[40:41]
	v_add_f64 v[143:144], v[143:144], v[172:173]
	v_fma_f64 v[172:173], v[131:132], s[4:5], v[135:136]
	v_add_f64 v[97:98], v[157:158], v[97:98]
	v_fma_f64 v[131:132], v[131:132], s[4:5], -v[135:136]
	v_fma_f64 v[133:134], v[93:94], s[14:15], -v[121:122]
	v_fma_f64 v[135:136], v[95:96], s[14:15], v[123:124]
	v_mul_f64 v[157:158], v[153:154], s[40:41]
	v_fma_f64 v[121:122], v[93:94], s[14:15], v[121:122]
	v_add_f64 v[101:102], v[129:130], v[101:102]
	v_fma_f64 v[123:124], v[95:96], s[14:15], -v[123:124]
	v_fma_f64 v[129:130], v[93:94], s[24:25], -v[155:156]
	v_add_f64 v[105:106], v[184:185], v[105:106]
	v_add_f64 v[115:116], v[115:116], v[176:177]
	;; [unrolled: 1-line block ×4, first 2 shown]
	v_fma_f64 v[131:132], v[95:96], s[24:25], v[157:158]
	v_add_f64 v[113:114], v[121:122], v[113:114]
	v_mul_f64 v[121:122], v[147:148], s[36:37]
	v_mul_f64 v[133:134], v[153:154], s[36:37]
	v_add_f64 v[109:110], v[123:124], v[109:110]
	v_add_f64 v[111:112], v[129:130], v[111:112]
	v_fma_f64 v[123:124], v[93:94], s[24:25], v[155:156]
	v_mul_f64 v[129:130], v[147:148], s[22:23]
	v_add_f64 v[105:106], v[135:136], v[105:106]
	v_add_f64 v[115:116], v[131:132], v[115:116]
	v_fma_f64 v[131:132], v[95:96], s[24:25], -v[157:158]
	v_fma_f64 v[135:136], v[93:94], s[2:3], -v[121:122]
	v_fma_f64 v[155:156], v[95:96], s[2:3], v[133:134]
	v_mul_f64 v[157:158], v[153:154], s[22:23]
	v_fma_f64 v[121:122], v[93:94], s[2:3], v[121:122]
	v_fma_f64 v[133:134], v[95:96], s[2:3], -v[133:134]
	v_add_f64 v[123:124], v[123:124], v[137:138]
	v_fma_f64 v[137:138], v[93:94], s[4:5], -v[129:130]
	v_add_f64 v[99:100], v[170:171], v[99:100]
	v_add_f64 v[135:136], v[135:136], v[141:142]
	;; [unrolled: 1-line block ×3, first 2 shown]
	v_fma_f64 v[141:142], v[95:96], s[4:5], v[157:158]
	v_add_f64 v[117:118], v[121:122], v[117:118]
	v_add_f64 v[119:120], v[133:134], v[119:120]
	v_fma_f64 v[121:122], v[93:94], s[4:5], v[129:130]
	v_add_f64 v[129:130], v[137:138], v[143:144]
	v_mul_f64 v[133:134], v[147:148], s[20:21]
	v_mul_f64 v[137:138], v[153:154], s[20:21]
	v_add_f64 v[143:144], v[127:128], -v[91:92]
	v_add_f64 v[141:142], v[141:142], v[145:146]
	v_add_f64 v[145:146], v[125:126], -v[89:90]
	v_add_f64 v[89:90], v[125:126], v[89:90]
	v_add_f64 v[121:122], v[121:122], v[149:150]
	v_fma_f64 v[147:148], v[95:96], s[4:5], -v[157:158]
	v_fma_f64 v[125:126], v[93:94], s[18:19], -v[133:134]
	v_fma_f64 v[149:150], v[95:96], s[18:19], v[137:138]
	v_mul_f64 v[153:154], v[143:144], s[20:21]
	v_add_f64 v[91:92], v[127:128], v[91:92]
	v_mul_f64 v[127:128], v[145:146], s[20:21]
	v_fma_f64 v[93:94], v[93:94], s[18:19], v[133:134]
	v_fma_f64 v[95:96], v[95:96], s[18:19], -v[137:138]
	v_mul_f64 v[137:138], v[143:144], s[34:35]
	v_add_f64 v[99:100], v[125:126], v[99:100]
	v_add_f64 v[125:126], v[149:150], v[151:152]
	v_fma_f64 v[133:134], v[89:90], s[18:19], -v[153:154]
	v_mul_f64 v[149:150], v[145:146], s[34:35]
	v_add_f64 v[97:98], v[147:148], v[97:98]
	v_fma_f64 v[147:148], v[91:92], s[18:19], v[127:128]
	v_fma_f64 v[151:152], v[89:90], s[18:19], v[153:154]
	v_add_f64 v[93:94], v[93:94], v[101:102]
	v_add_f64 v[95:96], v[95:96], v[103:104]
	v_fma_f64 v[101:102], v[91:92], s[18:19], -v[127:128]
	v_add_f64 v[103:104], v[133:134], v[107:108]
	v_fma_f64 v[107:108], v[89:90], s[14:15], -v[137:138]
	v_fma_f64 v[127:128], v[91:92], s[14:15], v[149:150]
	v_fma_f64 v[133:134], v[89:90], s[14:15], v[137:138]
	v_mul_f64 v[137:138], v[143:144], s[22:23]
	v_add_f64 v[168:169], v[168:169], v[178:179]
	v_add_f64 v[105:106], v[147:148], v[105:106]
	;; [unrolled: 1-line block ×3, first 2 shown]
	v_mul_f64 v[147:148], v[145:146], s[22:23]
	v_mul_f64 v[151:152], v[145:146], s[26:27]
	v_add_f64 v[107:108], v[107:108], v[111:112]
	v_add_f64 v[111:112], v[127:128], v[115:116]
	v_fma_f64 v[115:116], v[89:90], s[4:5], -v[137:138]
	v_fma_f64 v[137:138], v[89:90], s[4:5], v[137:138]
	v_add_f64 v[131:132], v[131:132], v[139:140]
	v_add_f64 v[139:140], v[155:156], v[168:169]
	;; [unrolled: 1-line block ×3, first 2 shown]
	v_fma_f64 v[109:110], v[91:92], s[14:15], -v[149:150]
	v_mul_f64 v[149:150], v[143:144], s[26:27]
	v_fma_f64 v[127:128], v[91:92], s[4:5], v[147:148]
	v_fma_f64 v[155:156], v[91:92], s[24:25], v[151:152]
	v_add_f64 v[123:124], v[133:134], v[123:124]
	v_add_f64 v[117:118], v[137:138], v[117:118]
	v_add_f64 v[133:134], v[82:83], -v[86:87]
	v_mul_f64 v[137:138], v[143:144], s[36:37]
	v_fma_f64 v[147:148], v[91:92], s[4:5], -v[147:148]
	v_add_f64 v[109:110], v[109:110], v[131:132]
	v_add_f64 v[115:116], v[115:116], v[135:136]
	;; [unrolled: 1-line block ×4, first 2 shown]
	v_add_f64 v[135:136], v[80:81], -v[84:85]
	v_mul_f64 v[139:140], v[145:146], s[36:37]
	v_fma_f64 v[141:142], v[89:90], s[24:25], v[149:150]
	v_fma_f64 v[143:144], v[91:92], s[24:25], -v[151:152]
	v_add_f64 v[145:146], v[80:81], v[84:85]
	v_mul_f64 v[84:85], v[133:134], s[26:27]
	v_fma_f64 v[80:81], v[89:90], s[2:3], -v[137:138]
	v_fma_f64 v[153:154], v[89:90], s[24:25], -v[149:150]
	v_add_f64 v[119:120], v[147:148], v[119:120]
	v_add_f64 v[147:148], v[82:83], v[86:87]
	v_mul_f64 v[86:87], v[135:136], s[26:27]
	v_fma_f64 v[82:83], v[91:92], s[2:3], v[139:140]
	v_add_f64 v[121:122], v[141:142], v[121:122]
	v_add_f64 v[141:142], v[143:144], v[97:98]
	v_fma_f64 v[89:90], v[89:90], s[2:3], v[137:138]
	v_fma_f64 v[91:92], v[91:92], s[2:3], -v[139:140]
	v_fma_f64 v[97:98], v[145:146], s[24:25], -v[84:85]
	v_add_f64 v[139:140], v[80:81], v[99:100]
	v_mul_f64 v[99:100], v[133:134], s[30:31]
	v_mul_f64 v[143:144], v[135:136], s[30:31]
	v_fma_f64 v[137:138], v[147:148], s[24:25], v[86:87]
	v_fma_f64 v[86:87], v[147:148], s[24:25], -v[86:87]
	v_add_f64 v[149:150], v[89:90], v[93:94]
	v_add_f64 v[151:152], v[91:92], v[95:96]
	;; [unrolled: 1-line block ×3, first 2 shown]
	v_mul_f64 v[97:98], v[133:134], s[20:21]
	v_fma_f64 v[89:90], v[145:146], s[4:5], -v[99:100]
	v_mul_f64 v[103:104], v[135:136], s[20:21]
	v_fma_f64 v[95:96], v[147:148], s[4:5], -v[143:144]
	v_fma_f64 v[84:85], v[145:146], s[24:25], v[84:85]
	v_fma_f64 v[91:92], v[147:148], s[4:5], v[143:144]
	v_add_f64 v[125:126], v[82:83], v[125:126]
	v_add_f64 v[82:83], v[137:138], v[105:106]
	v_fma_f64 v[93:94], v[145:146], s[4:5], v[99:100]
	v_add_f64 v[86:87], v[86:87], v[101:102]
	v_add_f64 v[89:90], v[89:90], v[107:108]
	v_fma_f64 v[99:100], v[145:146], s[18:19], -v[97:98]
	v_fma_f64 v[101:102], v[147:148], s[18:19], v[103:104]
	v_add_f64 v[95:96], v[95:96], v[109:110]
	v_fma_f64 v[105:106], v[145:146], s[18:19], v[97:98]
	v_mul_f64 v[107:108], v[133:134], s[36:37]
	v_mul_f64 v[109:110], v[135:136], s[36:37]
	v_add_f64 v[84:85], v[84:85], v[113:114]
	v_add_f64 v[91:92], v[91:92], v[111:112]
	v_mul_f64 v[111:112], v[133:134], s[16:17]
	v_mul_f64 v[113:114], v[135:136], s[16:17]
	v_fma_f64 v[103:104], v[147:148], s[18:19], -v[103:104]
	v_add_f64 v[129:130], v[153:154], v[129:130]
	v_add_f64 v[97:98], v[99:100], v[115:116]
	;; [unrolled: 1-line block ×4, first 2 shown]
	v_fma_f64 v[105:106], v[145:146], s[2:3], -v[107:108]
	v_fma_f64 v[115:116], v[147:148], s[2:3], v[109:110]
	v_fma_f64 v[117:118], v[145:146], s[2:3], v[107:108]
	v_add_f64 v[93:94], v[93:94], v[123:124]
	v_fma_f64 v[123:124], v[145:146], s[14:15], -v[111:112]
	v_fma_f64 v[127:128], v[147:148], s[14:15], v[113:114]
	v_add_f64 v[103:104], v[103:104], v[119:120]
	v_fma_f64 v[119:120], v[147:148], s[2:3], -v[109:110]
	v_fma_f64 v[133:134], v[145:146], s[14:15], v[111:112]
	v_fma_f64 v[135:136], v[147:148], s[14:15], -v[113:114]
	v_add_f64 v[105:106], v[105:106], v[129:130]
	v_add_f64 v[107:108], v[115:116], v[131:132]
	;; [unrolled: 1-line block ×3, first 2 shown]
	v_lshrrev_b32_e32 v121, 2, v164
	v_add_f64 v[113:114], v[123:124], v[139:140]
	v_add_f64 v[115:116], v[127:128], v[125:126]
	v_mul_u32_u24_e32 v121, 44, v121
	v_add_f64 v[111:112], v[119:120], v[141:142]
	v_add_f64 v[117:118], v[133:134], v[149:150]
	;; [unrolled: 1-line block ×3, first 2 shown]
	v_or_b32_e32 v88, v121, v88
	v_lshlrev_b32_e32 v168, 4, v88
	ds_write_b128 v168, v[76:79]
	ds_write_b128 v168, v[80:83] offset:64
	ds_write_b128 v168, v[89:92] offset:128
	ds_write_b128 v168, v[97:100] offset:192
	ds_write_b128 v168, v[105:108] offset:256
	ds_write_b128 v168, v[113:116] offset:320
	ds_write_b128 v168, v[117:120] offset:384
	ds_write_b128 v168, v[109:112] offset:448
	ds_write_b128 v168, v[101:104] offset:512
	ds_write_b128 v168, v[93:96] offset:576
	v_mov_b32_e32 v77, s29
	v_mov_b32_e32 v76, s28
	v_mad_u64_u32 v[116:117], s[28:29], v164, s12, v[76:77]
	ds_write_b128 v168, v[84:87] offset:640
	s_waitcnt lgkmcnt(0)
	; wave barrier
	s_waitcnt lgkmcnt(0)
	global_load_dwordx4 v[100:103], v[116:117], off offset:640
	global_load_dwordx4 v[96:99], v[116:117], off offset:656
	;; [unrolled: 1-line block ×10, first 2 shown]
	ds_read_b128 v[116:119], v163 offset:704
	ds_read_b128 v[120:123], v163
	ds_read_b128 v[124:127], v163 offset:1408
	ds_read_b128 v[128:131], v163 offset:2112
	s_waitcnt vmcnt(9) lgkmcnt(3)
	v_mul_f64 v[132:133], v[118:119], v[102:103]
	v_mul_f64 v[134:135], v[116:117], v[102:103]
	s_waitcnt vmcnt(8) lgkmcnt(1)
	v_mul_f64 v[136:137], v[126:127], v[98:99]
	v_mul_f64 v[138:139], v[124:125], v[98:99]
	;; [unrolled: 3-line block ×3, first 2 shown]
	v_fma_f64 v[132:133], v[116:117], v[100:101], -v[132:133]
	v_fma_f64 v[134:135], v[118:119], v[100:101], v[134:135]
	v_fma_f64 v[136:137], v[124:125], v[96:97], -v[136:137]
	ds_read_b128 v[116:119], v163 offset:2816
	v_fma_f64 v[138:139], v[126:127], v[96:97], v[138:139]
	ds_read_b128 v[124:127], v163 offset:3520
	v_fma_f64 v[140:141], v[128:129], v[80:81], -v[140:141]
	v_fma_f64 v[142:143], v[130:131], v[80:81], v[142:143]
	v_add_f64 v[144:145], v[120:121], v[132:133]
	v_add_f64 v[146:147], v[122:123], v[134:135]
	s_waitcnt vmcnt(6) lgkmcnt(1)
	v_mul_f64 v[148:149], v[118:119], v[78:79]
	s_waitcnt vmcnt(5) lgkmcnt(0)
	v_mul_f64 v[150:151], v[126:127], v[106:107]
	v_mul_f64 v[152:153], v[124:125], v[106:107]
	v_add_f64 v[128:129], v[144:145], v[136:137]
	v_mul_f64 v[144:145], v[116:117], v[78:79]
	v_add_f64 v[146:147], v[146:147], v[138:139]
	v_fma_f64 v[148:149], v[116:117], v[76:77], -v[148:149]
	v_fma_f64 v[150:151], v[124:125], v[104:105], -v[150:151]
	v_fma_f64 v[152:153], v[126:127], v[104:105], v[152:153]
	ds_read_b128 v[124:127], v163 offset:5632
	v_add_f64 v[154:155], v[128:129], v[140:141]
	ds_read_b128 v[128:131], v163 offset:4224
	v_fma_f64 v[144:145], v[118:119], v[76:77], v[144:145]
	ds_read_b128 v[116:119], v163 offset:4928
	v_add_f64 v[146:147], v[146:147], v[142:143]
	s_waitcnt vmcnt(4) lgkmcnt(1)
	v_mul_f64 v[156:157], v[130:131], v[94:95]
	v_mul_f64 v[158:159], v[128:129], v[94:95]
	v_add_f64 v[154:155], v[154:155], v[148:149]
	s_waitcnt vmcnt(3) lgkmcnt(0)
	v_mul_f64 v[169:170], v[118:119], v[90:91]
	v_mul_f64 v[171:172], v[116:117], v[90:91]
	v_add_f64 v[146:147], v[146:147], v[144:145]
	v_fma_f64 v[156:157], v[128:129], v[92:93], -v[156:157]
	v_fma_f64 v[158:159], v[130:131], v[92:93], v[158:159]
	v_add_f64 v[154:155], v[154:155], v[150:151]
	ds_read_b128 v[128:131], v163 offset:6336
	s_waitcnt vmcnt(2)
	v_mul_f64 v[173:174], v[126:127], v[86:87]
	v_fma_f64 v[169:170], v[116:117], v[88:89], -v[169:170]
	v_add_f64 v[146:147], v[146:147], v[152:153]
	v_mul_f64 v[175:176], v[124:125], v[86:87]
	v_fma_f64 v[171:172], v[118:119], v[88:89], v[171:172]
	ds_read_b128 v[116:119], v163 offset:7040
	v_add_f64 v[154:155], v[154:155], v[156:157]
	v_fma_f64 v[124:125], v[124:125], v[84:85], -v[173:174]
	s_waitcnt vmcnt(1) lgkmcnt(1)
	v_mul_f64 v[173:174], v[130:131], v[110:111]
	v_add_f64 v[146:147], v[146:147], v[158:159]
	v_fma_f64 v[126:127], v[126:127], v[84:85], v[175:176]
	v_mul_f64 v[175:176], v[128:129], v[110:111]
	s_waitcnt vmcnt(0) lgkmcnt(0)
	v_mul_f64 v[177:178], v[116:117], v[114:115]
	v_add_f64 v[154:155], v[154:155], v[169:170]
	v_add_f64 v[221:222], v[148:149], -v[169:170]
	v_add_f64 v[213:214], v[140:141], -v[124:125]
	v_fma_f64 v[173:174], v[128:129], v[108:109], -v[173:174]
	v_add_f64 v[146:147], v[146:147], v[171:172]
	v_mul_f64 v[128:129], v[118:119], v[114:115]
	v_fma_f64 v[175:176], v[130:131], v[108:109], v[175:176]
	v_fma_f64 v[118:119], v[118:119], v[112:113], v[177:178]
	v_add_f64 v[154:155], v[154:155], v[124:125]
	v_add_f64 v[211:212], v[142:143], -v[126:127]
	v_add_f64 v[217:218], v[142:143], v[126:127]
	v_add_f64 v[207:208], v[136:137], -v[173:174]
	v_add_f64 v[130:131], v[146:147], v[126:127]
	v_fma_f64 v[116:117], v[116:117], v[112:113], -v[128:129]
	v_add_f64 v[219:220], v[140:141], v[124:125]
	v_add_f64 v[146:147], v[134:135], -v[118:119]
	v_add_f64 v[128:129], v[154:155], v[173:174]
	v_add_f64 v[173:174], v[136:137], v[173:174]
	v_mul_f64 v[124:125], v[211:212], s[16:17]
	v_mul_f64 v[136:137], v[207:208], s[38:39]
	v_add_f64 v[130:131], v[130:131], v[175:176]
	v_add_f64 v[154:155], v[132:133], v[116:117]
	v_mul_f64 v[126:127], v[213:214], s[16:17]
	v_mul_f64 v[177:178], v[146:147], s[22:23]
	v_add_f64 v[128:129], v[128:129], v[116:117]
	v_add_f64 v[116:117], v[132:133], -v[116:117]
	v_mul_f64 v[179:180], v[146:147], s[38:39]
	v_mul_f64 v[132:133], v[146:147], s[20:21]
	v_add_f64 v[130:131], v[130:131], v[118:119]
	v_add_f64 v[118:119], v[134:135], v[118:119]
	v_mul_f64 v[134:135], v[146:147], s[16:17]
	v_mul_f64 v[146:147], v[146:147], s[26:27]
	v_fma_f64 v[181:182], v[154:155], s[4:5], -v[177:178]
	v_mul_f64 v[189:190], v[116:117], s[22:23]
	v_mul_f64 v[191:192], v[116:117], s[38:39]
	v_fma_f64 v[177:178], v[154:155], s[4:5], v[177:178]
	v_fma_f64 v[183:184], v[154:155], s[2:3], -v[179:180]
	v_fma_f64 v[179:180], v[154:155], s[2:3], v[179:180]
	v_fma_f64 v[185:186], v[154:155], s[14:15], -v[134:135]
	;; [unrolled: 2-line block ×4, first 2 shown]
	v_mul_f64 v[195:196], v[116:117], s[16:17]
	v_fma_f64 v[146:147], v[154:155], s[24:25], v[146:147]
	v_mul_f64 v[154:155], v[116:117], s[20:21]
	v_mul_f64 v[116:117], v[116:117], s[26:27]
	v_fma_f64 v[197:198], v[118:119], s[4:5], v[189:190]
	v_fma_f64 v[199:200], v[118:119], s[2:3], v[191:192]
	v_fma_f64 v[189:190], v[118:119], s[4:5], -v[189:190]
	v_fma_f64 v[191:192], v[118:119], s[2:3], -v[191:192]
	v_fma_f64 v[201:202], v[118:119], s[14:15], v[195:196]
	v_fma_f64 v[195:196], v[118:119], s[14:15], -v[195:196]
	v_fma_f64 v[203:204], v[118:119], s[18:19], v[154:155]
	;; [unrolled: 2-line block ×3, first 2 shown]
	v_fma_f64 v[116:117], v[118:119], s[24:25], -v[116:117]
	v_add_f64 v[118:119], v[120:121], v[181:182]
	v_add_f64 v[181:182], v[122:123], v[197:198]
	;; [unrolled: 1-line block ×3, first 2 shown]
	v_add_f64 v[199:200], v[138:139], -v[175:176]
	v_add_f64 v[209:210], v[120:121], v[134:135]
	v_add_f64 v[175:176], v[138:139], v[175:176]
	v_add_f64 v[215:216], v[120:121], v[132:133]
	v_add_f64 v[177:178], v[120:121], v[177:178]
	v_add_f64 v[183:184], v[120:121], v[183:184]
	v_add_f64 v[179:180], v[120:121], v[179:180]
	v_add_f64 v[185:186], v[120:121], v[185:186]
	v_mul_f64 v[134:135], v[199:200], s[38:39]
	v_add_f64 v[187:188], v[120:121], v[187:188]
	v_fma_f64 v[138:139], v[175:176], s[2:3], v[136:137]
	v_add_f64 v[193:194], v[120:121], v[193:194]
	v_fma_f64 v[140:141], v[217:218], s[14:15], v[126:127]
	v_add_f64 v[146:147], v[120:121], v[146:147]
	v_add_f64 v[223:224], v[122:123], v[116:117]
	;; [unrolled: 1-line block ×3, first 2 shown]
	v_fma_f64 v[132:133], v[173:174], s[2:3], -v[134:135]
	v_mul_f64 v[120:121], v[221:222], s[20:21]
	v_add_f64 v[169:170], v[152:153], -v[158:159]
	v_add_f64 v[189:190], v[122:123], v[189:190]
	v_add_f64 v[191:192], v[122:123], v[191:192]
	;; [unrolled: 1-line block ×7, first 2 shown]
	v_add_f64 v[181:182], v[144:145], -v[171:172]
	v_fma_f64 v[138:139], v[219:220], s[14:15], -v[124:125]
	v_add_f64 v[144:145], v[144:145], v[171:172]
	v_add_f64 v[171:172], v[150:151], -v[156:157]
	v_add_f64 v[154:155], v[122:123], v[154:155]
	v_add_f64 v[205:206], v[122:123], v[205:206]
	;; [unrolled: 1-line block ×4, first 2 shown]
	v_mul_f64 v[116:117], v[181:182], s[20:21]
	v_add_f64 v[118:119], v[138:139], v[118:119]
	v_fma_f64 v[132:133], v[173:174], s[2:3], v[134:135]
	v_fma_f64 v[134:135], v[175:176], s[2:3], -v[136:137]
	v_fma_f64 v[138:139], v[144:145], s[18:19], v[120:121]
	v_add_f64 v[150:151], v[150:151], v[156:157]
	v_mul_f64 v[140:141], v[169:170], s[26:27]
	v_mul_f64 v[142:143], v[171:172], s[26:27]
	v_fma_f64 v[136:137], v[148:149], s[18:19], -v[116:117]
	v_fma_f64 v[124:125], v[219:220], s[14:15], v[124:125]
	v_add_f64 v[132:133], v[132:133], v[177:178]
	v_add_f64 v[134:135], v[134:135], v[189:190]
	v_fma_f64 v[126:127], v[217:218], s[14:15], -v[126:127]
	v_add_f64 v[122:123], v[138:139], v[122:123]
	v_mul_f64 v[156:157], v[199:200], s[20:21]
	v_fma_f64 v[138:139], v[152:153], s[24:25], v[142:143]
	v_add_f64 v[118:119], v[136:137], v[118:119]
	v_fma_f64 v[136:137], v[150:151], s[24:25], -v[140:141]
	v_mul_f64 v[158:159], v[207:208], s[20:21]
	v_add_f64 v[124:125], v[124:125], v[132:133]
	v_add_f64 v[126:127], v[126:127], v[134:135]
	v_fma_f64 v[116:117], v[148:149], s[18:19], v[116:117]
	v_fma_f64 v[120:121], v[144:145], s[18:19], -v[120:121]
	v_add_f64 v[134:135], v[138:139], v[122:123]
	v_mul_f64 v[138:139], v[213:214], s[40:41]
	v_add_f64 v[132:133], v[136:137], v[118:119]
	v_fma_f64 v[118:119], v[173:174], s[18:19], -v[156:157]
	v_fma_f64 v[122:123], v[175:176], s[18:19], v[158:159]
	v_mul_f64 v[136:137], v[211:212], s[40:41]
	v_add_f64 v[116:117], v[116:117], v[124:125]
	v_add_f64 v[120:121], v[120:121], v[126:127]
	v_fma_f64 v[124:125], v[150:151], s[24:25], v[140:141]
	v_fma_f64 v[126:127], v[152:153], s[24:25], -v[142:143]
	v_fma_f64 v[177:178], v[217:218], s[24:25], v[138:139]
	v_add_f64 v[140:141], v[118:119], v[183:184]
	v_add_f64 v[122:123], v[122:123], v[197:198]
	v_fma_f64 v[142:143], v[219:220], s[24:25], -v[136:137]
	v_mul_f64 v[183:184], v[181:182], s[34:35]
	v_mul_f64 v[189:190], v[221:222], s[34:35]
	v_add_f64 v[116:117], v[124:125], v[116:117]
	v_add_f64 v[118:119], v[126:127], v[120:121]
	v_fma_f64 v[120:121], v[173:174], s[18:19], v[156:157]
	v_fma_f64 v[124:125], v[175:176], s[18:19], -v[158:159]
	v_add_f64 v[122:123], v[177:178], v[122:123]
	v_add_f64 v[126:127], v[142:143], v[140:141]
	v_fma_f64 v[140:141], v[148:149], s[14:15], -v[183:184]
	v_fma_f64 v[142:143], v[144:145], s[14:15], v[189:190]
	v_mul_f64 v[156:157], v[169:170], s[30:31]
	v_mul_f64 v[158:159], v[171:172], s[30:31]
	v_add_f64 v[120:121], v[120:121], v[179:180]
	v_add_f64 v[124:125], v[124:125], v[191:192]
	v_fma_f64 v[136:137], v[219:220], s[24:25], v[136:137]
	v_fma_f64 v[138:139], v[217:218], s[24:25], -v[138:139]
	v_add_f64 v[126:127], v[140:141], v[126:127]
	v_add_f64 v[122:123], v[142:143], v[122:123]
	v_fma_f64 v[140:141], v[150:151], s[4:5], -v[156:157]
	v_fma_f64 v[142:143], v[152:153], s[4:5], v[158:159]
	v_mul_f64 v[179:180], v[207:208], s[40:41]
	v_mul_f64 v[177:178], v[199:200], s[40:41]
	v_add_f64 v[120:121], v[136:137], v[120:121]
	v_add_f64 v[124:125], v[138:139], v[124:125]
	v_fma_f64 v[183:184], v[148:149], s[14:15], v[183:184]
	v_fma_f64 v[189:190], v[144:145], s[14:15], -v[189:190]
	v_add_f64 v[136:137], v[140:141], v[126:127]
	v_add_f64 v[138:139], v[142:143], v[122:123]
	v_fma_f64 v[126:127], v[175:176], s[24:25], v[179:180]
	v_mul_f64 v[142:143], v[213:214], s[36:37]
	v_fma_f64 v[122:123], v[173:174], s[24:25], -v[177:178]
	v_mul_f64 v[140:141], v[211:212], s[36:37]
	v_add_f64 v[120:121], v[183:184], v[120:121]
	v_add_f64 v[124:125], v[189:190], v[124:125]
	v_fma_f64 v[156:157], v[150:151], s[4:5], v[156:157]
	v_mul_f64 v[197:198], v[221:222], s[22:23]
	v_add_f64 v[126:127], v[126:127], v[201:202]
	v_fma_f64 v[189:190], v[217:218], s[2:3], v[142:143]
	v_fma_f64 v[158:159], v[152:153], s[4:5], -v[158:159]
	v_add_f64 v[183:184], v[122:123], v[185:186]
	v_fma_f64 v[185:186], v[219:220], s[2:3], -v[140:141]
	v_mul_f64 v[191:192], v[181:182], s[22:23]
	v_add_f64 v[120:121], v[156:157], v[120:121]
	v_fma_f64 v[156:157], v[175:176], s[24:25], -v[179:180]
	v_fma_f64 v[179:180], v[144:145], s[4:5], v[197:198]
	v_add_f64 v[126:127], v[189:190], v[126:127]
	v_add_f64 v[122:123], v[158:159], v[124:125]
	v_fma_f64 v[124:125], v[173:174], s[24:25], v[177:178]
	v_add_f64 v[158:159], v[185:186], v[183:184]
	v_fma_f64 v[177:178], v[148:149], s[4:5], -v[191:192]
	v_mul_f64 v[183:184], v[169:170], s[20:21]
	v_mul_f64 v[185:186], v[171:172], s[20:21]
	v_add_f64 v[156:157], v[156:157], v[195:196]
	v_add_f64 v[126:127], v[179:180], v[126:127]
	v_mul_f64 v[179:180], v[207:208], s[34:35]
	v_add_f64 v[124:125], v[124:125], v[209:210]
	v_fma_f64 v[140:141], v[219:220], s[2:3], v[140:141]
	v_fma_f64 v[142:143], v[217:218], s[2:3], -v[142:143]
	v_add_f64 v[158:159], v[177:178], v[158:159]
	v_fma_f64 v[189:190], v[150:151], s[18:19], -v[183:184]
	v_fma_f64 v[195:196], v[152:153], s[18:19], v[185:186]
	v_mul_f64 v[227:228], v[213:214], s[22:23]
	v_fma_f64 v[209:210], v[175:176], s[14:15], v[179:180]
	v_mul_f64 v[177:178], v[199:200], s[34:35]
	v_add_f64 v[124:125], v[140:141], v[124:125]
	v_add_f64 v[156:157], v[142:143], v[156:157]
	v_fma_f64 v[191:192], v[148:149], s[4:5], v[191:192]
	v_add_f64 v[140:141], v[189:190], v[158:159]
	v_add_f64 v[142:143], v[195:196], v[126:127]
	v_fma_f64 v[189:190], v[217:218], s[4:5], v[227:228]
	v_add_f64 v[158:159], v[209:210], v[203:204]
	v_mul_f64 v[195:196], v[221:222], s[26:27]
	v_fma_f64 v[197:198], v[144:145], s[4:5], -v[197:198]
	v_fma_f64 v[201:202], v[173:174], s[14:15], -v[177:178]
	v_mul_f64 v[225:226], v[211:212], s[22:23]
	v_add_f64 v[124:125], v[191:192], v[124:125]
	v_fma_f64 v[183:184], v[150:151], s[18:19], v[183:184]
	v_fma_f64 v[177:178], v[173:174], s[14:15], v[177:178]
	v_fma_f64 v[179:180], v[175:176], s[14:15], -v[179:180]
	v_add_f64 v[158:159], v[189:190], v[158:159]
	v_fma_f64 v[189:190], v[144:145], s[24:25], v[195:196]
	v_add_f64 v[126:127], v[197:198], v[156:157]
	v_mul_f64 v[191:192], v[181:182], s[26:27]
	v_mul_f64 v[197:198], v[207:208], s[30:31]
	v_add_f64 v[124:125], v[183:184], v[124:125]
	v_add_f64 v[177:178], v[177:178], v[215:216]
	;; [unrolled: 1-line block ×3, first 2 shown]
	v_fma_f64 v[179:180], v[219:220], s[4:5], v[225:226]
	v_fma_f64 v[183:184], v[217:218], s[4:5], -v[227:228]
	v_add_f64 v[158:159], v[189:190], v[158:159]
	v_mul_f64 v[189:190], v[199:200], s[30:31]
	v_add_f64 v[156:157], v[201:202], v[187:188]
	v_fma_f64 v[187:188], v[219:220], s[4:5], -v[225:226]
	v_fma_f64 v[201:202], v[175:176], s[4:5], v[197:198]
	v_mul_f64 v[203:204], v[211:212], s[20:21]
	v_add_f64 v[177:178], v[179:180], v[177:178]
	v_add_f64 v[154:155], v[183:184], v[154:155]
	v_fma_f64 v[179:180], v[148:149], s[24:25], v[191:192]
	v_fma_f64 v[183:184], v[144:145], s[24:25], -v[195:196]
	v_fma_f64 v[199:200], v[173:174], s[4:5], -v[189:190]
	v_mul_f64 v[207:208], v[213:214], s[20:21]
	v_fma_f64 v[173:174], v[173:174], s[4:5], v[189:190]
	v_fma_f64 v[175:176], v[175:176], s[4:5], -v[197:198]
	v_fma_f64 v[185:186], v[152:153], s[18:19], -v[185:186]
	v_add_f64 v[156:157], v[187:188], v[156:157]
	v_fma_f64 v[187:188], v[148:149], s[24:25], -v[191:192]
	v_add_f64 v[177:178], v[179:180], v[177:178]
	v_add_f64 v[154:155], v[183:184], v[154:155]
	;; [unrolled: 1-line block ×4, first 2 shown]
	v_fma_f64 v[189:190], v[219:220], s[18:19], -v[203:204]
	v_fma_f64 v[193:194], v[217:218], s[18:19], v[207:208]
	v_mul_f64 v[181:182], v[181:182], s[36:37]
	v_mul_f64 v[197:198], v[221:222], s[36:37]
	v_add_f64 v[146:147], v[173:174], v[146:147]
	v_add_f64 v[173:174], v[175:176], v[223:224]
	v_fma_f64 v[175:176], v[219:220], s[18:19], v[203:204]
	v_fma_f64 v[199:200], v[217:218], s[18:19], -v[207:208]
	v_add_f64 v[126:127], v[185:186], v[126:127]
	v_add_f64 v[156:157], v[187:188], v[156:157]
	v_mul_f64 v[185:186], v[169:170], s[36:37]
	v_mul_f64 v[187:188], v[171:172], s[36:37]
	v_add_f64 v[179:180], v[189:190], v[179:180]
	v_add_f64 v[183:184], v[193:194], v[183:184]
	v_fma_f64 v[189:190], v[148:149], s[2:3], -v[181:182]
	v_fma_f64 v[193:194], v[144:145], s[2:3], v[197:198]
	v_mul_f64 v[169:170], v[169:170], s[16:17]
	v_mul_f64 v[171:172], v[171:172], s[16:17]
	v_add_f64 v[146:147], v[175:176], v[146:147]
	v_add_f64 v[173:174], v[199:200], v[173:174]
	v_fma_f64 v[148:149], v[148:149], s[2:3], v[181:182]
	v_fma_f64 v[144:145], v[144:145], s[2:3], -v[197:198]
	v_fma_f64 v[191:192], v[150:151], s[2:3], -v[185:186]
	v_fma_f64 v[195:196], v[152:153], s[2:3], v[187:188]
	v_fma_f64 v[175:176], v[150:151], s[2:3], v[185:186]
	v_fma_f64 v[181:182], v[152:153], s[2:3], -v[187:188]
	v_add_f64 v[179:180], v[189:190], v[179:180]
	v_add_f64 v[183:184], v[193:194], v[183:184]
	v_fma_f64 v[185:186], v[150:151], s[14:15], -v[169:170]
	v_fma_f64 v[187:188], v[152:153], s[14:15], v[171:172]
	v_add_f64 v[189:190], v[148:149], v[146:147]
	v_add_f64 v[173:174], v[144:145], v[173:174]
	v_fma_f64 v[169:170], v[150:151], s[14:15], v[169:170]
	v_fma_f64 v[171:172], v[152:153], s[14:15], -v[171:172]
	v_add_f64 v[144:145], v[191:192], v[156:157]
	v_add_f64 v[146:147], v[195:196], v[158:159]
	;; [unrolled: 1-line block ×8, first 2 shown]
	ds_write_b128 v163, v[128:131]
	ds_write_b128 v163, v[132:135] offset:704
	ds_write_b128 v163, v[136:139] offset:1408
	;; [unrolled: 1-line block ×3, first 2 shown]
	v_mov_b32_e32 v128, s13
	v_addc_co_u32_e64 v142, s[0:1], 0, v128, s[0:1]
	s_movk_i32 s4, 0x1000
	v_add_co_u32_e64 v128, s[0:1], s4, v160
	v_addc_co_u32_e64 v129, s[0:1], 0, v142, s[0:1]
	s_movk_i32 s0, 0x1e40
	ds_write_b128 v163, v[144:147] offset:2816
	ds_write_b128 v163, v[152:155] offset:3520
	;; [unrolled: 1-line block ×7, first 2 shown]
	s_waitcnt lgkmcnt(0)
	; wave barrier
	s_waitcnt lgkmcnt(0)
	global_load_dwordx4 v[130:133], v[128:129], off offset:3648
	v_add_co_u32_e64 v128, s[0:1], s0, v160
	v_addc_co_u32_e64 v129, s[0:1], 0, v142, s[0:1]
	global_load_dwordx4 v[134:137], v[128:129], off offset:1936
	global_load_dwordx4 v[138:141], v[128:129], off offset:3872
	s_movk_i32 s0, 0x3000
	v_add_co_u32_e64 v158, s[0:1], s0, v160
	v_addc_co_u32_e64 v159, s[0:1], 0, v142, s[0:1]
	global_load_dwordx4 v[142:145], v[158:159], off offset:1264
	global_load_dwordx4 v[146:149], v[128:129], off offset:704
	;; [unrolled: 1-line block ×5, first 2 shown]
	ds_read_b128 v[173:176], v163
	ds_read_b128 v[177:180], v163 offset:704
	ds_read_b128 v[181:184], v163 offset:1936
	;; [unrolled: 1-line block ×7, first 2 shown]
	s_waitcnt vmcnt(7) lgkmcnt(7)
	v_mul_f64 v[158:159], v[175:176], v[132:133]
	v_mul_f64 v[132:133], v[173:174], v[132:133]
	s_waitcnt vmcnt(6) lgkmcnt(5)
	v_mul_f64 v[205:206], v[183:184], v[136:137]
	v_mul_f64 v[136:137], v[181:182], v[136:137]
	;; [unrolled: 3-line block ×4, first 2 shown]
	v_fma_f64 v[173:174], v[173:174], v[130:131], -v[158:159]
	v_fma_f64 v[175:176], v[175:176], v[130:131], v[132:133]
	v_fma_f64 v[130:131], v[181:182], v[134:135], -v[205:206]
	v_fma_f64 v[132:133], v[183:184], v[134:135], v[136:137]
	;; [unrolled: 2-line block ×4, first 2 shown]
	s_waitcnt vmcnt(3)
	v_mul_f64 v[142:143], v[179:180], v[148:149]
	v_mul_f64 v[144:145], v[177:178], v[148:149]
	s_waitcnt vmcnt(2)
	v_mul_f64 v[148:149], v[187:188], v[152:153]
	v_mul_f64 v[152:153], v[185:186], v[152:153]
	s_waitcnt vmcnt(1) lgkmcnt(1)
	v_mul_f64 v[158:159], v[199:200], v[156:157]
	v_mul_f64 v[156:157], v[197:198], v[156:157]
	s_waitcnt vmcnt(0) lgkmcnt(0)
	v_mul_f64 v[181:182], v[203:204], v[171:172]
	v_mul_f64 v[171:172], v[201:202], v[171:172]
	v_fma_f64 v[142:143], v[177:178], v[146:147], -v[142:143]
	v_fma_f64 v[144:145], v[179:180], v[146:147], v[144:145]
	v_fma_f64 v[146:147], v[185:186], v[150:151], -v[148:149]
	v_fma_f64 v[148:149], v[187:188], v[150:151], v[152:153]
	;; [unrolled: 2-line block ×4, first 2 shown]
	ds_write_b128 v163, v[173:176]
	ds_write_b128 v163, v[130:133] offset:1936
	ds_write_b128 v163, v[134:137] offset:3872
	;; [unrolled: 1-line block ×7, first 2 shown]
	s_and_saveexec_b64 s[2:3], vcc
	s_cbranch_execz .LBB0_9
; %bb.8:
	global_load_dwordx4 v[130:133], v[128:129], off offset:1408
	global_load_dwordx4 v[134:137], v[128:129], off offset:3344
	v_add_co_u32_e64 v128, s[0:1], s4, v128
	v_addc_co_u32_e64 v129, s[0:1], 0, v129, s[0:1]
	global_load_dwordx4 v[138:141], v[128:129], off offset:1184
	global_load_dwordx4 v[142:145], v[128:129], off offset:3120
	ds_read_b128 v[146:149], v163 offset:1408
	ds_read_b128 v[150:153], v163 offset:3344
	;; [unrolled: 1-line block ×4, first 2 shown]
	s_waitcnt vmcnt(3) lgkmcnt(3)
	v_mul_f64 v[128:129], v[148:149], v[132:133]
	v_mul_f64 v[132:133], v[146:147], v[132:133]
	s_waitcnt vmcnt(2) lgkmcnt(2)
	v_mul_f64 v[158:159], v[152:153], v[136:137]
	v_mul_f64 v[136:137], v[150:151], v[136:137]
	;; [unrolled: 3-line block ×4, first 2 shown]
	v_fma_f64 v[128:129], v[146:147], v[130:131], -v[128:129]
	v_fma_f64 v[130:131], v[148:149], v[130:131], v[132:133]
	v_fma_f64 v[132:133], v[150:151], v[134:135], -v[158:159]
	v_fma_f64 v[134:135], v[152:153], v[134:135], v[136:137]
	;; [unrolled: 2-line block ×4, first 2 shown]
	ds_write_b128 v163, v[128:131] offset:1408
	ds_write_b128 v163, v[132:135] offset:3344
	;; [unrolled: 1-line block ×4, first 2 shown]
.LBB0_9:
	s_or_b64 exec, exec, s[2:3]
	s_waitcnt lgkmcnt(0)
	; wave barrier
	s_waitcnt lgkmcnt(0)
	ds_read_b128 v[128:131], v163
	ds_read_b128 v[132:135], v163 offset:704
	ds_read_b128 v[140:143], v163 offset:1936
	;; [unrolled: 1-line block ×7, first 2 shown]
	v_add_u32_e32 v167, 0xb00, v167
	s_and_saveexec_b64 s[0:1], vcc
	s_cbranch_execz .LBB0_11
; %bb.10:
	ds_read_b128 v[124:127], v163 offset:1408
	ds_read_b128 v[120:123], v163 offset:3344
	;; [unrolled: 1-line block ×4, first 2 shown]
.LBB0_11:
	s_or_b64 exec, exec, s[0:1]
	s_waitcnt lgkmcnt(3)
	v_add_f64 v[156:157], v[128:129], -v[156:157]
	v_add_f64 v[158:159], v[130:131], -v[158:159]
	s_waitcnt lgkmcnt(1)
	v_add_f64 v[152:153], v[140:141], -v[152:153]
	v_add_f64 v[154:155], v[142:143], -v[154:155]
	;; [unrolled: 1-line block ×4, first 2 shown]
	s_waitcnt lgkmcnt(0)
	v_add_f64 v[144:145], v[136:137], -v[144:145]
	v_add_f64 v[146:147], v[138:139], -v[146:147]
	v_fma_f64 v[148:149], v[128:129], 2.0, -v[156:157]
	v_fma_f64 v[150:151], v[130:131], 2.0, -v[158:159]
	;; [unrolled: 1-line block ×8, first 2 shown]
	v_add_f64 v[132:133], v[156:157], v[154:155]
	v_add_f64 v[134:135], v[158:159], -v[152:153]
	v_add_f64 v[128:129], v[148:149], -v[128:129]
	;; [unrolled: 1-line block ×3, first 2 shown]
	v_add_f64 v[140:141], v[169:170], v[146:147]
	v_add_f64 v[142:143], v[171:172], -v[144:145]
	v_add_f64 v[136:137], v[173:174], -v[136:137]
	;; [unrolled: 1-line block ×3, first 2 shown]
	s_waitcnt lgkmcnt(0)
	; wave barrier
	v_fma_f64 v[144:145], v[148:149], 2.0, -v[128:129]
	v_fma_f64 v[146:147], v[150:151], 2.0, -v[130:131]
	;; [unrolled: 1-line block ×8, first 2 shown]
	ds_write_b128 v166, v[144:147]
	ds_write_b128 v166, v[148:151] offset:16
	ds_write_b128 v166, v[128:131] offset:32
	;; [unrolled: 1-line block ×3, first 2 shown]
	ds_write_b128 v167, v[152:155]
	ds_write_b128 v167, v[156:159] offset:16
	ds_write_b128 v167, v[136:139] offset:32
	;; [unrolled: 1-line block ×3, first 2 shown]
	s_and_saveexec_b64 s[0:1], vcc
	s_cbranch_execz .LBB0_13
; %bb.12:
	v_add_f64 v[128:129], v[126:127], -v[118:119]
	v_add_f64 v[118:119], v[122:123], -v[58:59]
	v_add_f64 v[130:131], v[124:125], -v[116:117]
	v_add_f64 v[56:57], v[120:121], -v[56:57]
	v_fma_f64 v[126:127], v[126:127], 2.0, -v[128:129]
	v_fma_f64 v[116:117], v[122:123], 2.0, -v[118:119]
	;; [unrolled: 1-line block ×4, first 2 shown]
	v_add_f64 v[58:59], v[128:129], -v[56:57]
	v_add_f64 v[56:57], v[130:131], v[118:119]
	v_add_f64 v[118:119], v[126:127], -v[116:117]
	v_add_f64 v[116:117], v[124:125], -v[120:121]
	v_fma_f64 v[122:123], v[128:129], 2.0, -v[58:59]
	v_fma_f64 v[120:121], v[130:131], 2.0, -v[56:57]
	;; [unrolled: 1-line block ×4, first 2 shown]
	ds_write_b128 v165, v[120:123] offset:16
	ds_write_b128 v165, v[116:119] offset:32
	ds_write_b128 v165, v[124:127]
	ds_write_b128 v165, v[56:59] offset:48
.LBB0_13:
	s_or_b64 exec, exec, s[0:1]
	s_waitcnt lgkmcnt(0)
	; wave barrier
	s_waitcnt lgkmcnt(0)
	ds_read_b128 v[56:59], v163 offset:704
	ds_read_b128 v[116:119], v163 offset:1408
	ds_read_b128 v[120:123], v163
	ds_read_b128 v[124:127], v163 offset:2112
	s_mov_b32 s12, 0xf8bb580b
	s_mov_b32 s4, 0x8764f0ba
	s_waitcnt lgkmcnt(2)
	v_mul_f64 v[130:131], v[70:71], v[118:119]
	v_mul_f64 v[128:129], v[74:75], v[58:59]
	;; [unrolled: 1-line block ×4, first 2 shown]
	s_waitcnt lgkmcnt(0)
	v_mul_f64 v[134:135], v[46:47], v[126:127]
	v_mul_f64 v[46:47], v[46:47], v[124:125]
	s_mov_b32 s0, 0x8eee2c13
	s_mov_b32 s2, 0xd9c712b6
	v_fma_f64 v[138:139], v[68:69], v[116:117], v[130:131]
	v_fma_f64 v[136:137], v[72:73], v[56:57], v[128:129]
	v_fma_f64 v[74:75], v[72:73], v[58:59], -v[74:75]
	v_fma_f64 v[68:69], v[68:69], v[118:119], -v[132:133]
	ds_read_b128 v[56:59], v163 offset:2816
	ds_read_b128 v[70:73], v163 offset:3520
	v_fma_f64 v[144:145], v[44:45], v[124:125], v[134:135]
	v_fma_f64 v[146:147], v[44:45], v[126:127], -v[46:47]
	ds_read_b128 v[116:119], v163 offset:4224
	ds_read_b128 v[128:131], v163 offset:4928
	s_waitcnt lgkmcnt(3)
	v_mul_f64 v[142:143], v[38:39], v[58:59]
	v_add_f64 v[132:133], v[120:121], v[136:137]
	v_add_f64 v[140:141], v[122:123], v[74:75]
	v_mul_f64 v[38:39], v[38:39], v[56:57]
	s_waitcnt lgkmcnt(2)
	v_mul_f64 v[150:151], v[54:55], v[72:73]
	v_mul_f64 v[54:55], v[54:55], v[70:71]
	s_mov_b32 s20, 0x640f44db
	s_mov_b32 s24, 0xbb3a28a1
	v_fma_f64 v[56:57], v[36:37], v[56:57], v[142:143]
	v_add_f64 v[148:149], v[132:133], v[138:139]
	v_add_f64 v[140:141], v[140:141], v[68:69]
	v_fma_f64 v[36:37], v[36:37], v[58:59], -v[38:39]
	v_fma_f64 v[70:71], v[52:53], v[70:71], v[150:151]
	v_fma_f64 v[52:53], v[52:53], v[72:73], -v[54:55]
	ds_read_b128 v[44:47], v163 offset:5632
	ds_read_b128 v[124:127], v163 offset:6336
	;; [unrolled: 1-line block ×3, first 2 shown]
	s_mov_b32 s26, 0x7f775887
	s_mov_b32 s30, 0xfd768dbf
	v_add_f64 v[38:39], v[148:149], v[144:145]
	v_add_f64 v[58:59], v[140:141], v[146:147]
	s_waitcnt lgkmcnt(4)
	v_mul_f64 v[140:141], v[50:51], v[118:119]
	v_mul_f64 v[50:51], v[50:51], v[116:117]
	s_waitcnt lgkmcnt(0)
	v_mul_f64 v[72:73], v[66:67], v[132:133]
	v_mul_f64 v[66:67], v[66:67], v[134:135]
	s_mov_b32 s34, 0x9bcd5057
	s_mov_b32 s13, 0xbfe14ced
	v_add_f64 v[38:39], v[38:39], v[56:57]
	v_add_f64 v[54:55], v[58:59], v[36:37]
	v_mul_f64 v[58:59], v[42:43], v[130:131]
	v_mul_f64 v[42:43], v[42:43], v[128:129]
	v_fma_f64 v[116:117], v[48:49], v[116:117], v[140:141]
	v_fma_f64 v[48:49], v[48:49], v[118:119], -v[50:51]
	s_mov_b32 s5, 0x3feaeb8c
	s_mov_b32 s1, 0xbfed1bb4
	v_add_f64 v[38:39], v[38:39], v[70:71]
	v_add_f64 v[50:51], v[54:55], v[52:53]
	v_mul_f64 v[54:55], v[34:35], v[46:47]
	v_mul_f64 v[34:35], v[34:35], v[44:45]
	v_fma_f64 v[58:59], v[40:41], v[128:129], v[58:59]
	v_fma_f64 v[40:41], v[40:41], v[130:131], -v[42:43]
	v_fma_f64 v[42:43], v[64:65], v[134:135], -v[72:73]
	v_mul_f64 v[72:73], v[62:63], v[126:127]
	v_add_f64 v[38:39], v[38:39], v[116:117]
	v_add_f64 v[50:51], v[50:51], v[48:49]
	v_mul_f64 v[62:63], v[62:63], v[124:125]
	v_fma_f64 v[44:45], v[32:33], v[44:45], v[54:55]
	v_fma_f64 v[46:47], v[32:33], v[46:47], -v[34:35]
	v_fma_f64 v[32:33], v[64:65], v[132:133], v[66:67]
	v_add_f64 v[54:55], v[74:75], -v[42:43]
	s_mov_b32 s3, 0x3fda9628
	v_add_f64 v[34:35], v[38:39], v[58:59]
	v_add_f64 v[38:39], v[50:51], v[40:41]
	v_fma_f64 v[50:51], v[60:61], v[124:125], v[72:73]
	v_fma_f64 v[60:61], v[60:61], v[126:127], -v[62:63]
	v_add_f64 v[62:63], v[74:75], v[42:43]
	s_mov_b32 s21, 0xbfc2375f
	s_mov_b32 s25, 0xbfe82f19
	;; [unrolled: 1-line block ×3, first 2 shown]
	v_add_f64 v[34:35], v[34:35], v[44:45]
	v_add_f64 v[38:39], v[38:39], v[46:47]
	s_mov_b32 s31, 0xbfd207e7
	s_mov_b32 s35, 0xbfeeb42a
	v_add_f64 v[64:65], v[136:137], v[32:33]
	v_mul_f64 v[66:67], v[54:55], s[12:13]
	v_add_f64 v[72:73], v[136:137], -v[32:33]
	v_mul_f64 v[74:75], v[62:63], s[4:5]
	v_add_f64 v[34:35], v[34:35], v[50:51]
	v_add_f64 v[38:39], v[38:39], v[60:61]
	v_mul_f64 v[124:125], v[54:55], s[0:1]
	v_mul_f64 v[126:127], v[62:63], s[2:3]
	v_mul_f64 v[130:131], v[54:55], s[16:17]
	v_mul_f64 v[134:135], v[62:63], s[20:21]
	v_mul_f64 v[136:137], v[54:55], s[24:25]
	v_mul_f64 v[140:141], v[62:63], s[26:27]
	v_mul_f64 v[54:55], v[54:55], s[30:31]
	v_mul_f64 v[62:63], v[62:63], s[34:35]
	v_add_f64 v[152:153], v[68:69], -v[60:61]
	v_add_f64 v[60:61], v[68:69], v[60:61]
	s_mov_b32 s19, 0x3fe14ced
	s_mov_b32 s18, s12
	s_mov_b32 s37, 0x3fd207e7
	s_mov_b32 s36, s30
	v_fma_f64 v[118:119], v[64:65], s[4:5], v[66:67]
	v_fma_f64 v[128:129], v[72:73], s[18:19], v[74:75]
	v_fma_f64 v[66:67], v[64:65], s[4:5], -v[66:67]
	v_add_f64 v[32:33], v[34:35], v[32:33]
	v_add_f64 v[34:35], v[38:39], v[42:43]
	v_fma_f64 v[42:43], v[72:73], s[12:13], v[74:75]
	v_fma_f64 v[74:75], v[64:65], s[2:3], v[124:125]
	v_fma_f64 v[124:125], v[64:65], s[2:3], -v[124:125]
	v_fma_f64 v[132:133], v[64:65], s[20:21], v[130:131]
	v_fma_f64 v[130:131], v[64:65], s[20:21], -v[130:131]
	;; [unrolled: 2-line block ×3, first 2 shown]
	v_fma_f64 v[68:69], v[64:65], s[34:35], v[54:55]
	v_fma_f64 v[154:155], v[72:73], s[36:37], v[62:63]
	v_add_f64 v[156:157], v[138:139], v[50:51]
	v_add_f64 v[50:51], v[138:139], -v[50:51]
	v_mul_f64 v[138:139], v[152:153], s[0:1]
	v_mul_f64 v[158:159], v[60:61], s[2:3]
	v_fma_f64 v[54:55], v[64:65], s[34:35], -v[54:55]
	s_mov_b32 s15, 0x3fed1bb4
	s_mov_b32 s14, s0
	;; [unrolled: 1-line block ×6, first 2 shown]
	v_add_f64 v[38:39], v[120:121], v[118:119]
	v_fma_f64 v[118:119], v[72:73], s[14:15], v[126:127]
	v_add_f64 v[128:129], v[122:123], v[128:129]
	v_add_f64 v[66:67], v[120:121], v[66:67]
	;; [unrolled: 1-line block ×3, first 2 shown]
	v_fma_f64 v[126:127], v[72:73], s[0:1], v[126:127]
	v_fma_f64 v[142:143], v[72:73], s[22:23], v[134:135]
	;; [unrolled: 1-line block ×4, first 2 shown]
	v_add_f64 v[124:125], v[120:121], v[124:125]
	v_add_f64 v[132:133], v[120:121], v[132:133]
	;; [unrolled: 1-line block ×4, first 2 shown]
	v_fma_f64 v[140:141], v[72:73], s[24:25], v[140:141]
	v_add_f64 v[136:137], v[120:121], v[136:137]
	v_fma_f64 v[62:63], v[72:73], s[30:31], v[62:63]
	v_add_f64 v[64:65], v[120:121], v[68:69]
	v_add_f64 v[68:69], v[122:123], v[154:155]
	v_mul_f64 v[72:73], v[152:153], s[24:25]
	v_mul_f64 v[154:155], v[60:61], s[26:27]
	v_fma_f64 v[169:170], v[50:51], s[14:15], v[158:159]
	v_add_f64 v[54:55], v[120:121], v[54:55]
	v_fma_f64 v[120:121], v[156:157], s[2:3], -v[138:139]
	v_add_f64 v[42:43], v[122:123], v[42:43]
	v_add_f64 v[118:119], v[122:123], v[118:119]
	;; [unrolled: 1-line block ×7, first 2 shown]
	v_fma_f64 v[165:166], v[156:157], s[2:3], v[138:139]
	v_add_f64 v[62:63], v[122:123], v[62:63]
	v_fma_f64 v[122:123], v[50:51], s[0:1], v[158:159]
	v_fma_f64 v[138:139], v[156:157], s[26:27], v[72:73]
	;; [unrolled: 1-line block ×3, first 2 shown]
	v_add_f64 v[128:129], v[169:170], v[128:129]
	v_mul_f64 v[169:170], v[60:61], s[34:35]
	v_add_f64 v[66:67], v[120:121], v[66:67]
	v_fma_f64 v[120:121], v[50:51], s[24:25], v[154:155]
	v_mul_f64 v[154:155], v[152:153], s[22:23]
	v_add_f64 v[38:39], v[165:166], v[38:39]
	v_mul_f64 v[165:166], v[152:153], s[36:37]
	v_add_f64 v[74:75], v[138:139], v[74:75]
	v_add_f64 v[118:119], v[158:159], v[118:119]
	v_fma_f64 v[72:73], v[156:157], s[26:27], -v[72:73]
	v_fma_f64 v[138:139], v[50:51], s[30:31], v[169:170]
	v_mul_f64 v[158:159], v[60:61], s[20:21]
	v_add_f64 v[120:121], v[120:121], v[126:127]
	v_fma_f64 v[126:127], v[156:157], s[20:21], v[154:155]
	v_add_f64 v[42:43], v[122:123], v[42:43]
	v_fma_f64 v[122:123], v[156:157], s[34:35], v[165:166]
	v_mul_f64 v[152:153], v[152:153], s[18:19]
	v_add_f64 v[72:73], v[72:73], v[124:125]
	v_add_f64 v[124:125], v[138:139], v[142:143]
	v_fma_f64 v[138:139], v[156:157], s[20:21], -v[154:155]
	v_fma_f64 v[142:143], v[50:51], s[22:23], v[158:159]
	v_mul_f64 v[60:61], v[60:61], s[4:5]
	v_add_f64 v[126:127], v[126:127], v[148:149]
	v_add_f64 v[148:149], v[146:147], -v[46:47]
	v_add_f64 v[122:123], v[122:123], v[132:133]
	v_fma_f64 v[132:133], v[50:51], s[16:17], v[158:159]
	v_add_f64 v[46:47], v[146:147], v[46:47]
	v_add_f64 v[136:137], v[138:139], v[136:137]
	;; [unrolled: 1-line block ×3, first 2 shown]
	v_fma_f64 v[140:141], v[156:157], s[4:5], v[152:153]
	v_fma_f64 v[142:143], v[50:51], s[12:13], v[60:61]
	v_add_f64 v[146:147], v[144:145], v[44:45]
	v_add_f64 v[44:45], v[144:145], -v[44:45]
	v_mul_f64 v[144:145], v[148:149], s[16:17]
	v_fma_f64 v[169:170], v[50:51], s[36:37], v[169:170]
	v_add_f64 v[132:133], v[132:133], v[150:151]
	v_mul_f64 v[150:151], v[46:47], s[20:21]
	v_fma_f64 v[152:153], v[156:157], s[4:5], -v[152:153]
	v_fma_f64 v[50:51], v[50:51], s[18:19], v[60:61]
	v_add_f64 v[60:61], v[140:141], v[64:65]
	v_add_f64 v[64:65], v[142:143], v[68:69]
	v_mul_f64 v[68:69], v[148:149], s[36:37]
	v_mul_f64 v[140:141], v[46:47], s[34:35]
	v_fma_f64 v[142:143], v[146:147], s[20:21], v[144:145]
	v_fma_f64 v[154:155], v[44:45], s[22:23], v[150:151]
	v_add_f64 v[54:55], v[152:153], v[54:55]
	v_add_f64 v[50:51], v[50:51], v[62:63]
	v_fma_f64 v[62:63], v[146:147], s[20:21], -v[144:145]
	v_fma_f64 v[144:145], v[44:45], s[16:17], v[150:151]
	v_fma_f64 v[150:151], v[146:147], s[34:35], v[68:69]
	;; [unrolled: 1-line block ×3, first 2 shown]
	v_add_f64 v[38:39], v[142:143], v[38:39]
	v_mul_f64 v[142:143], v[148:149], s[14:15]
	v_fma_f64 v[165:166], v[156:157], s[34:35], -v[165:166]
	v_add_f64 v[128:129], v[154:155], v[128:129]
	v_mul_f64 v[154:155], v[46:47], s[2:3]
	v_add_f64 v[62:63], v[62:63], v[66:67]
	v_add_f64 v[66:67], v[150:151], v[74:75]
	v_add_f64 v[74:75], v[152:153], v[118:119]
	v_fma_f64 v[68:69], v[146:147], s[34:35], -v[68:69]
	v_fma_f64 v[118:119], v[44:45], s[36:37], v[140:141]
	v_fma_f64 v[140:141], v[146:147], s[2:3], v[142:143]
	v_mul_f64 v[150:151], v[148:149], s[12:13]
	v_add_f64 v[130:131], v[165:166], v[130:131]
	v_add_f64 v[42:43], v[144:145], v[42:43]
	v_fma_f64 v[144:145], v[44:45], s[0:1], v[154:155]
	v_mul_f64 v[152:153], v[46:47], s[4:5]
	v_fma_f64 v[142:143], v[146:147], s[2:3], -v[142:143]
	v_add_f64 v[68:69], v[68:69], v[72:73]
	v_add_f64 v[72:73], v[118:119], v[120:121]
	;; [unrolled: 1-line block ×3, first 2 shown]
	v_fma_f64 v[122:123], v[146:147], s[4:5], v[150:151]
	v_mul_f64 v[140:141], v[148:149], s[24:25]
	v_add_f64 v[120:121], v[144:145], v[124:125]
	v_fma_f64 v[124:125], v[44:45], s[18:19], v[152:153]
	v_add_f64 v[130:131], v[142:143], v[130:131]
	v_mul_f64 v[46:47], v[46:47], s[26:27]
	v_fma_f64 v[142:143], v[146:147], s[4:5], -v[150:151]
	v_fma_f64 v[144:145], v[44:45], s[12:13], v[152:153]
	v_add_f64 v[122:123], v[122:123], v[126:127]
	v_add_f64 v[126:127], v[36:37], -v[40:41]
	v_add_f64 v[36:37], v[36:37], v[40:41]
	v_add_f64 v[124:125], v[124:125], v[132:133]
	v_fma_f64 v[40:41], v[146:147], s[26:27], v[140:141]
	v_fma_f64 v[132:133], v[44:45], s[28:29], v[46:47]
	v_add_f64 v[136:137], v[142:143], v[136:137]
	v_add_f64 v[142:143], v[56:57], v[58:59]
	v_add_f64 v[56:57], v[56:57], -v[58:59]
	v_mul_f64 v[58:59], v[126:127], s[24:25]
	v_add_f64 v[138:139], v[144:145], v[138:139]
	v_mul_f64 v[144:145], v[36:37], s[26:27]
	v_add_f64 v[40:41], v[40:41], v[60:61]
	v_add_f64 v[60:61], v[132:133], v[64:65]
	v_fma_f64 v[64:65], v[146:147], s[26:27], -v[140:141]
	v_add_f64 v[134:135], v[169:170], v[134:135]
	v_fma_f64 v[154:155], v[44:45], s[14:15], v[154:155]
	v_fma_f64 v[140:141], v[142:143], s[26:27], v[58:59]
	v_fma_f64 v[58:59], v[142:143], s[26:27], -v[58:59]
	v_fma_f64 v[44:45], v[44:45], s[24:25], v[46:47]
	v_mul_f64 v[46:47], v[126:127], s[22:23]
	v_mul_f64 v[132:133], v[36:37], s[20:21]
	v_fma_f64 v[146:147], v[56:57], s[28:29], v[144:145]
	v_fma_f64 v[144:145], v[56:57], s[24:25], v[144:145]
	v_add_f64 v[134:135], v[154:155], v[134:135]
	v_add_f64 v[38:39], v[140:141], v[38:39]
	;; [unrolled: 1-line block ×3, first 2 shown]
	v_mul_f64 v[62:63], v[126:127], s[12:13]
	v_mul_f64 v[140:141], v[36:37], s[4:5]
	v_add_f64 v[54:55], v[64:65], v[54:55]
	v_add_f64 v[44:45], v[44:45], v[50:51]
	v_fma_f64 v[50:51], v[142:143], s[20:21], v[46:47]
	v_fma_f64 v[64:65], v[56:57], s[16:17], v[132:133]
	v_add_f64 v[128:129], v[146:147], v[128:129]
	v_add_f64 v[42:43], v[144:145], v[42:43]
	v_fma_f64 v[46:47], v[142:143], s[20:21], -v[46:47]
	v_fma_f64 v[132:133], v[56:57], s[22:23], v[132:133]
	v_fma_f64 v[144:145], v[142:143], s[4:5], v[62:63]
	;; [unrolled: 1-line block ×3, first 2 shown]
	v_fma_f64 v[62:63], v[142:143], s[4:5], -v[62:63]
	v_fma_f64 v[140:141], v[56:57], s[12:13], v[140:141]
	v_add_f64 v[50:51], v[50:51], v[66:67]
	v_add_f64 v[64:65], v[64:65], v[74:75]
	v_mul_f64 v[66:67], v[126:127], s[30:31]
	v_mul_f64 v[74:75], v[36:37], s[34:35]
	v_add_f64 v[68:69], v[46:47], v[68:69]
	v_add_f64 v[72:73], v[132:133], v[72:73]
	;; [unrolled: 1-line block ×4, first 2 shown]
	v_add_f64 v[132:133], v[52:53], -v[48:49]
	v_add_f64 v[134:135], v[52:53], v[48:49]
	v_mul_f64 v[46:47], v[126:127], s[14:15]
	v_fma_f64 v[148:149], v[142:143], s[34:35], v[66:67]
	v_fma_f64 v[150:151], v[56:57], s[36:37], v[74:75]
	v_mul_f64 v[36:37], v[36:37], s[2:3]
	v_fma_f64 v[48:49], v[142:143], s[34:35], -v[66:67]
	v_fma_f64 v[52:53], v[56:57], s[30:31], v[74:75]
	v_add_f64 v[66:67], v[70:71], v[116:117]
	v_add_f64 v[70:71], v[70:71], -v[116:117]
	v_mul_f64 v[74:75], v[132:133], s[30:31]
	v_mul_f64 v[116:117], v[134:135], s[34:35]
	v_fma_f64 v[126:127], v[142:143], s[2:3], v[46:47]
	v_fma_f64 v[140:141], v[56:57], s[0:1], v[36:37]
	v_add_f64 v[136:137], v[48:49], v[136:137]
	v_add_f64 v[138:139], v[52:53], v[138:139]
	v_fma_f64 v[46:47], v[142:143], s[2:3], -v[46:47]
	v_fma_f64 v[36:37], v[56:57], s[14:15], v[36:37]
	v_fma_f64 v[48:49], v[66:67], s[34:35], v[74:75]
	;; [unrolled: 1-line block ×3, first 2 shown]
	v_add_f64 v[126:127], v[126:127], v[40:41]
	v_mul_f64 v[40:41], v[132:133], s[18:19]
	v_mul_f64 v[56:57], v[134:135], s[4:5]
	v_add_f64 v[118:119], v[144:145], v[118:119]
	v_add_f64 v[140:141], v[140:141], v[60:61]
	;; [unrolled: 1-line block ×6, first 2 shown]
	v_fma_f64 v[44:45], v[66:67], s[34:35], -v[74:75]
	v_fma_f64 v[46:47], v[70:71], s[30:31], v[116:117]
	v_fma_f64 v[48:49], v[66:67], s[4:5], v[40:41]
	;; [unrolled: 1-line block ×3, first 2 shown]
	v_mul_f64 v[54:55], v[132:133], s[24:25]
	v_mul_f64 v[60:61], v[134:135], s[26:27]
	v_fma_f64 v[74:75], v[66:67], s[4:5], -v[40:41]
	v_fma_f64 v[56:57], v[70:71], s[18:19], v[56:57]
	v_add_f64 v[120:121], v[146:147], v[120:121]
	v_add_f64 v[40:41], v[44:45], v[58:59]
	;; [unrolled: 1-line block ×5, first 2 shown]
	v_fma_f64 v[58:59], v[70:71], s[28:29], v[60:61]
	v_add_f64 v[48:49], v[74:75], v[68:69]
	v_add_f64 v[50:51], v[56:57], v[72:73]
	v_fma_f64 v[56:57], v[66:67], s[26:27], -v[54:55]
	v_fma_f64 v[60:61], v[70:71], s[24:25], v[60:61]
	v_mul_f64 v[64:65], v[132:133], s[14:15]
	v_mul_f64 v[68:69], v[134:135], s[2:3]
	v_fma_f64 v[52:53], v[66:67], s[26:27], v[54:55]
	v_mul_f64 v[72:73], v[132:133], s[16:17]
	v_mul_f64 v[74:75], v[134:135], s[20:21]
	v_add_f64 v[122:123], v[148:149], v[122:123]
	v_add_f64 v[124:125], v[150:151], v[124:125]
	;; [unrolled: 1-line block ×5, first 2 shown]
	v_fma_f64 v[60:61], v[66:67], s[2:3], v[64:65]
	v_fma_f64 v[62:63], v[70:71], s[0:1], v[68:69]
	v_add_f64 v[52:53], v[52:53], v[118:119]
	v_fma_f64 v[68:69], v[70:71], s[14:15], v[68:69]
	v_fma_f64 v[116:117], v[66:67], s[20:21], v[72:73]
	;; [unrolled: 1-line block ×3, first 2 shown]
	v_fma_f64 v[72:73], v[66:67], s[20:21], -v[72:73]
	v_fma_f64 v[74:75], v[70:71], s[16:17], v[74:75]
	v_fma_f64 v[64:65], v[66:67], s[2:3], -v[64:65]
	v_add_f64 v[60:61], v[60:61], v[122:123]
	v_add_f64 v[62:63], v[62:63], v[124:125]
	;; [unrolled: 1-line block ×8, first 2 shown]
	s_waitcnt lgkmcnt(0)
	; wave barrier
	ds_write_b128 v168, v[32:35]
	ds_write_b128 v168, v[36:39] offset:64
	ds_write_b128 v168, v[44:47] offset:128
	;; [unrolled: 1-line block ×10, first 2 shown]
	s_waitcnt lgkmcnt(0)
	; wave barrier
	s_waitcnt lgkmcnt(0)
	ds_read_b128 v[32:35], v163 offset:704
	ds_read_b128 v[36:39], v163 offset:1408
	;; [unrolled: 1-line block ×3, first 2 shown]
	s_waitcnt lgkmcnt(2)
	v_mul_f64 v[44:45], v[102:103], v[34:35]
	v_mul_f64 v[46:47], v[102:103], v[32:33]
	s_waitcnt lgkmcnt(1)
	v_mul_f64 v[48:49], v[98:99], v[38:39]
	v_mul_f64 v[50:51], v[98:99], v[36:37]
	v_fma_f64 v[56:57], v[100:101], v[32:33], v[44:45]
	v_fma_f64 v[58:59], v[100:101], v[34:35], -v[46:47]
	ds_read_b128 v[44:47], v163
	v_fma_f64 v[60:61], v[96:97], v[36:37], v[48:49]
	v_fma_f64 v[62:63], v[96:97], v[38:39], -v[50:51]
	s_waitcnt lgkmcnt(1)
	v_mul_f64 v[48:49], v[82:83], v[42:43]
	v_mul_f64 v[50:51], v[82:83], v[40:41]
	ds_read_b128 v[32:35], v163 offset:2816
	ds_read_b128 v[36:39], v163 offset:3520
	s_waitcnt lgkmcnt(2)
	v_add_f64 v[52:53], v[44:45], v[56:57]
	v_add_f64 v[54:55], v[46:47], v[58:59]
	s_waitcnt lgkmcnt(1)
	v_mul_f64 v[64:65], v[78:79], v[34:35]
	v_fma_f64 v[66:67], v[80:81], v[40:41], v[48:49]
	v_fma_f64 v[68:69], v[80:81], v[42:43], -v[50:51]
	v_mul_f64 v[40:41], v[78:79], v[32:33]
	s_waitcnt lgkmcnt(0)
	v_mul_f64 v[50:51], v[106:107], v[38:39]
	v_add_f64 v[42:43], v[52:53], v[60:61]
	v_add_f64 v[48:49], v[54:55], v[62:63]
	v_mul_f64 v[52:53], v[106:107], v[36:37]
	v_fma_f64 v[64:65], v[76:77], v[32:33], v[64:65]
	v_fma_f64 v[70:71], v[76:77], v[34:35], -v[40:41]
	v_fma_f64 v[72:73], v[104:105], v[36:37], v[50:51]
	v_add_f64 v[54:55], v[42:43], v[66:67]
	v_add_f64 v[48:49], v[48:49], v[68:69]
	ds_read_b128 v[32:35], v163 offset:4224
	ds_read_b128 v[40:43], v163 offset:4928
	v_fma_f64 v[74:75], v[104:105], v[38:39], -v[52:53]
	s_waitcnt lgkmcnt(1)
	v_mul_f64 v[76:77], v[94:95], v[34:35]
	v_mul_f64 v[78:79], v[94:95], v[32:33]
	v_add_f64 v[80:81], v[54:55], v[64:65]
	v_add_f64 v[82:83], v[48:49], v[70:71]
	ds_read_b128 v[36:39], v163 offset:5632
	ds_read_b128 v[48:51], v163 offset:6336
	ds_read_b128 v[52:55], v163 offset:7040
	s_waitcnt lgkmcnt(3)
	v_mul_f64 v[94:95], v[90:91], v[42:43]
	v_mul_f64 v[90:91], v[90:91], v[40:41]
	v_fma_f64 v[76:77], v[92:93], v[32:33], v[76:77]
	v_fma_f64 v[78:79], v[92:93], v[34:35], -v[78:79]
	v_add_f64 v[32:33], v[80:81], v[72:73]
	v_add_f64 v[34:35], v[82:83], v[74:75]
	s_waitcnt lgkmcnt(2)
	v_mul_f64 v[80:81], v[86:87], v[38:39]
	s_waitcnt lgkmcnt(0)
	v_mul_f64 v[82:83], v[114:115], v[52:53]
	v_fma_f64 v[40:41], v[88:89], v[40:41], v[94:95]
	v_fma_f64 v[42:43], v[88:89], v[42:43], -v[90:91]
	v_mul_f64 v[86:87], v[86:87], v[36:37]
	v_mul_f64 v[88:89], v[114:115], v[54:55]
	v_add_f64 v[32:33], v[32:33], v[76:77]
	v_add_f64 v[34:35], v[34:35], v[78:79]
	v_fma_f64 v[80:81], v[84:85], v[36:37], v[80:81]
	v_mul_f64 v[36:37], v[110:111], v[50:51]
	v_fma_f64 v[54:55], v[112:113], v[54:55], -v[82:83]
	v_mul_f64 v[90:91], v[110:111], v[48:49]
	v_fma_f64 v[38:39], v[84:85], v[38:39], -v[86:87]
	v_add_f64 v[32:33], v[32:33], v[40:41]
	v_add_f64 v[34:35], v[34:35], v[42:43]
	v_fma_f64 v[48:49], v[108:109], v[48:49], v[36:37]
	v_fma_f64 v[36:37], v[112:113], v[52:53], v[88:89]
	v_add_f64 v[52:53], v[58:59], -v[54:55]
	v_add_f64 v[58:59], v[58:59], v[54:55]
	v_fma_f64 v[50:51], v[108:109], v[50:51], -v[90:91]
	v_add_f64 v[32:33], v[32:33], v[80:81]
	v_add_f64 v[34:35], v[34:35], v[38:39]
	;; [unrolled: 1-line block ×4, first 2 shown]
	v_add_f64 v[56:57], v[56:57], -v[36:37]
	v_mul_f64 v[84:85], v[52:53], s[12:13]
	v_mul_f64 v[86:87], v[58:59], s[4:5]
	v_add_f64 v[88:89], v[32:33], v[48:49]
	v_add_f64 v[90:91], v[34:35], v[50:51]
	v_mul_f64 v[106:107], v[52:53], s[24:25]
	v_mul_f64 v[108:109], v[58:59], s[26:27]
	;; [unrolled: 1-line block ×4, first 2 shown]
	v_fma_f64 v[96:97], v[82:83], s[4:5], v[84:85]
	v_fma_f64 v[98:99], v[56:57], s[18:19], v[86:87]
	v_add_f64 v[34:35], v[88:89], v[36:37]
	v_add_f64 v[36:37], v[90:91], v[54:55]
	v_mul_f64 v[100:101], v[58:59], s[20:21]
	v_fma_f64 v[110:111], v[82:83], s[26:27], v[106:107]
	v_fma_f64 v[112:113], v[56:57], s[28:29], v[108:109]
	v_fma_f64 v[106:107], v[82:83], s[26:27], -v[106:107]
	v_add_f64 v[90:91], v[44:45], v[96:97]
	v_add_f64 v[96:97], v[46:47], v[98:99]
	v_mul_f64 v[98:99], v[52:53], s[16:17]
	v_fma_f64 v[108:109], v[56:57], s[24:25], v[108:109]
	v_mul_f64 v[52:53], v[52:53], s[30:31]
	v_mul_f64 v[58:59], v[58:59], s[34:35]
	v_add_f64 v[114:115], v[62:63], -v[50:51]
	v_add_f64 v[50:51], v[62:63], v[50:51]
	v_add_f64 v[62:63], v[44:45], v[106:107]
	v_add_f64 v[48:49], v[60:61], -v[48:49]
	v_fma_f64 v[54:55], v[82:83], s[4:5], -v[84:85]
	v_add_f64 v[106:107], v[46:47], v[108:109]
	v_fma_f64 v[108:109], v[82:83], s[34:35], v[52:53]
	v_fma_f64 v[116:117], v[56:57], s[36:37], v[58:59]
	;; [unrolled: 1-line block ×3, first 2 shown]
	v_mul_f64 v[120:121], v[50:51], s[2:3]
	v_fma_f64 v[86:87], v[82:83], s[2:3], v[92:93]
	v_fma_f64 v[88:89], v[56:57], s[14:15], v[94:95]
	v_fma_f64 v[92:93], v[82:83], s[2:3], -v[92:93]
	v_fma_f64 v[94:95], v[56:57], s[0:1], v[94:95]
	v_fma_f64 v[102:103], v[82:83], s[20:21], v[98:99]
	;; [unrolled: 1-line block ×3, first 2 shown]
	v_fma_f64 v[98:99], v[82:83], s[20:21], -v[98:99]
	v_fma_f64 v[100:101], v[56:57], s[16:17], v[100:101]
	v_mul_f64 v[60:61], v[114:115], s[0:1]
	v_fma_f64 v[52:53], v[82:83], s[34:35], -v[52:53]
	v_fma_f64 v[56:57], v[56:57], s[30:31], v[58:59]
	v_add_f64 v[58:59], v[44:45], v[108:109]
	v_add_f64 v[82:83], v[46:47], v[116:117]
	v_mul_f64 v[108:109], v[114:115], s[24:25]
	v_mul_f64 v[116:117], v[50:51], s[26:27]
	v_fma_f64 v[124:125], v[48:49], s[14:15], v[120:121]
	v_add_f64 v[54:55], v[44:45], v[54:55]
	v_add_f64 v[84:85], v[46:47], v[84:85]
	;; [unrolled: 1-line block ×12, first 2 shown]
	v_fma_f64 v[122:123], v[118:119], s[2:3], v[60:61]
	v_add_f64 v[44:45], v[44:45], v[52:53]
	v_add_f64 v[46:47], v[46:47], v[56:57]
	v_fma_f64 v[52:53], v[118:119], s[2:3], -v[60:61]
	v_fma_f64 v[56:57], v[48:49], s[0:1], v[120:121]
	v_fma_f64 v[60:61], v[118:119], s[26:27], v[108:109]
	;; [unrolled: 1-line block ×3, first 2 shown]
	v_add_f64 v[96:97], v[124:125], v[96:97]
	v_mul_f64 v[124:125], v[50:51], s[34:35]
	v_add_f64 v[90:91], v[122:123], v[90:91]
	v_mul_f64 v[122:123], v[114:115], s[36:37]
	v_add_f64 v[52:53], v[52:53], v[54:55]
	v_add_f64 v[54:55], v[56:57], v[84:85]
	;; [unrolled: 1-line block ×4, first 2 shown]
	v_fma_f64 v[84:85], v[118:119], s[26:27], -v[108:109]
	v_fma_f64 v[86:87], v[48:49], s[24:25], v[116:117]
	v_fma_f64 v[108:109], v[48:49], s[30:31], v[124:125]
	v_mul_f64 v[116:117], v[114:115], s[22:23]
	v_mul_f64 v[120:121], v[50:51], s[20:21]
	v_fma_f64 v[88:89], v[118:119], s[34:35], v[122:123]
	v_mul_f64 v[114:115], v[114:115], s[18:19]
	v_mul_f64 v[50:51], v[50:51], s[4:5]
	v_add_f64 v[84:85], v[84:85], v[92:93]
	v_add_f64 v[86:87], v[86:87], v[94:95]
	;; [unrolled: 1-line block ×3, first 2 shown]
	v_fma_f64 v[94:95], v[118:119], s[20:21], v[116:117]
	v_fma_f64 v[104:105], v[118:119], s[20:21], -v[116:117]
	v_fma_f64 v[108:109], v[48:49], s[22:23], v[120:121]
	v_add_f64 v[88:89], v[88:89], v[102:103]
	v_fma_f64 v[102:103], v[48:49], s[16:17], v[120:121]
	v_fma_f64 v[124:125], v[48:49], s[36:37], v[124:125]
	v_fma_f64 v[122:123], v[118:119], s[34:35], -v[122:123]
	v_mad_u64_u32 v[32:33], s[38:39], s10, v162, 0
	v_add_f64 v[94:95], v[94:95], v[110:111]
	v_add_f64 v[110:111], v[68:69], -v[38:39]
	v_add_f64 v[38:39], v[68:69], v[38:39]
	v_add_f64 v[62:63], v[104:105], v[62:63]
	;; [unrolled: 1-line block ×3, first 2 shown]
	v_fma_f64 v[104:105], v[118:119], s[4:5], v[114:115]
	v_fma_f64 v[106:107], v[48:49], s[12:13], v[50:51]
	v_add_f64 v[102:103], v[102:103], v[112:113]
	v_add_f64 v[108:109], v[66:67], v[80:81]
	v_add_f64 v[66:67], v[66:67], -v[80:81]
	v_mul_f64 v[80:81], v[110:111], s[16:17]
	v_mul_f64 v[112:113], v[38:39], s[20:21]
	v_fma_f64 v[48:49], v[48:49], s[18:19], v[50:51]
	v_add_f64 v[50:51], v[104:105], v[58:59]
	v_add_f64 v[58:59], v[106:107], v[82:83]
	v_mul_f64 v[82:83], v[110:111], s[36:37]
	v_fma_f64 v[114:115], v[118:119], s[4:5], -v[114:115]
	v_mul_f64 v[104:105], v[38:39], s[34:35]
	v_fma_f64 v[106:107], v[108:109], s[20:21], v[80:81]
	v_fma_f64 v[116:117], v[66:67], s[22:23], v[112:113]
	v_add_f64 v[46:47], v[48:49], v[46:47]
	v_fma_f64 v[48:49], v[108:109], s[20:21], -v[80:81]
	v_fma_f64 v[80:81], v[66:67], s[16:17], v[112:113]
	v_fma_f64 v[112:113], v[108:109], s[34:35], v[82:83]
	v_add_f64 v[44:45], v[114:115], v[44:45]
	v_fma_f64 v[114:115], v[66:67], s[30:31], v[104:105]
	v_add_f64 v[90:91], v[106:107], v[90:91]
	v_add_f64 v[96:97], v[116:117], v[96:97]
	v_mul_f64 v[106:107], v[110:111], s[14:15]
	v_mul_f64 v[116:117], v[38:39], s[2:3]
	v_add_f64 v[48:49], v[48:49], v[52:53]
	v_add_f64 v[52:53], v[80:81], v[54:55]
	;; [unrolled: 1-line block ×3, first 2 shown]
	v_fma_f64 v[80:81], v[66:67], s[36:37], v[104:105]
	v_mul_f64 v[112:113], v[110:111], s[12:13]
	v_add_f64 v[56:57], v[114:115], v[60:61]
	v_fma_f64 v[60:61], v[108:109], s[34:35], -v[82:83]
	v_fma_f64 v[82:83], v[108:109], s[2:3], v[106:107]
	v_fma_f64 v[104:105], v[66:67], s[0:1], v[116:117]
	v_mul_f64 v[114:115], v[38:39], s[4:5]
	v_add_f64 v[98:99], v[122:123], v[98:99]
	v_add_f64 v[80:81], v[80:81], v[86:87]
	v_fma_f64 v[86:87], v[108:109], s[4:5], v[112:113]
	v_add_f64 v[100:101], v[124:125], v[100:101]
	v_fma_f64 v[106:107], v[108:109], s[2:3], -v[106:107]
	v_fma_f64 v[116:117], v[66:67], s[14:15], v[116:117]
	v_add_f64 v[60:61], v[60:61], v[84:85]
	v_add_f64 v[82:83], v[82:83], v[88:89]
	;; [unrolled: 1-line block ×3, first 2 shown]
	v_fma_f64 v[88:89], v[66:67], s[18:19], v[114:115]
	v_mul_f64 v[38:39], v[38:39], s[26:27]
	v_fma_f64 v[104:105], v[108:109], s[4:5], -v[112:113]
	v_add_f64 v[86:87], v[86:87], v[94:95]
	v_add_f64 v[94:95], v[70:71], -v[42:43]
	v_add_f64 v[92:93], v[106:107], v[98:99]
	v_add_f64 v[98:99], v[116:117], v[100:101]
	v_mul_f64 v[100:101], v[110:111], s[24:25]
	v_fma_f64 v[106:107], v[66:67], s[12:13], v[114:115]
	v_add_f64 v[88:89], v[88:89], v[102:103]
	v_add_f64 v[42:43], v[70:71], v[42:43]
	v_fma_f64 v[102:103], v[66:67], s[28:29], v[38:39]
	v_add_f64 v[62:63], v[104:105], v[62:63]
	v_add_f64 v[104:105], v[64:65], v[40:41]
	v_add_f64 v[40:41], v[64:65], -v[40:41]
	v_mul_f64 v[64:65], v[94:95], s[24:25]
	v_fma_f64 v[70:71], v[108:109], s[26:27], v[100:101]
	v_add_f64 v[68:69], v[106:107], v[68:69]
	v_mul_f64 v[106:107], v[42:43], s[26:27]
	v_add_f64 v[58:59], v[102:103], v[58:59]
	v_fma_f64 v[38:39], v[66:67], s[24:25], v[38:39]
	v_mul_f64 v[66:67], v[94:95], s[22:23]
	v_fma_f64 v[102:103], v[104:105], s[26:27], v[64:65]
	v_fma_f64 v[64:65], v[104:105], s[26:27], -v[64:65]
	v_add_f64 v[50:51], v[70:71], v[50:51]
	v_fma_f64 v[70:71], v[108:109], s[26:27], -v[100:101]
	v_mul_f64 v[100:101], v[42:43], s[20:21]
	v_fma_f64 v[108:109], v[40:41], s[28:29], v[106:107]
	v_fma_f64 v[106:107], v[40:41], s[24:25], v[106:107]
	v_add_f64 v[38:39], v[38:39], v[46:47]
	v_fma_f64 v[46:47], v[104:105], s[20:21], v[66:67]
	v_add_f64 v[48:49], v[64:65], v[48:49]
	v_mul_f64 v[64:65], v[94:95], s[12:13]
	v_add_f64 v[44:45], v[70:71], v[44:45]
	v_fma_f64 v[70:71], v[40:41], s[16:17], v[100:101]
	v_add_f64 v[90:91], v[102:103], v[90:91]
	v_add_f64 v[52:53], v[106:107], v[52:53]
	v_mul_f64 v[102:103], v[42:43], s[4:5]
	v_add_f64 v[96:97], v[108:109], v[96:97]
	v_add_f64 v[46:47], v[46:47], v[54:55]
	v_fma_f64 v[106:107], v[104:105], s[4:5], v[64:65]
	v_fma_f64 v[64:65], v[104:105], s[4:5], -v[64:65]
	v_add_f64 v[54:55], v[70:71], v[56:57]
	v_mul_f64 v[56:57], v[94:95], s[30:31]
	v_mul_f64 v[70:71], v[42:43], s[34:35]
	v_fma_f64 v[66:67], v[104:105], s[20:21], -v[66:67]
	v_fma_f64 v[100:101], v[40:41], s[22:23], v[100:101]
	v_fma_f64 v[108:109], v[40:41], s[18:19], v[102:103]
	;; [unrolled: 1-line block ×3, first 2 shown]
	v_add_f64 v[64:65], v[64:65], v[92:93]
	v_add_f64 v[92:93], v[74:75], -v[78:79]
	v_add_f64 v[74:75], v[74:75], v[78:79]
	v_mul_f64 v[42:43], v[42:43], s[2:3]
	v_mul_f64 v[78:79], v[94:95], s[14:15]
	v_fma_f64 v[110:111], v[104:105], s[34:35], v[56:57]
	v_add_f64 v[60:61], v[66:67], v[60:61]
	v_add_f64 v[66:67], v[100:101], v[80:81]
	;; [unrolled: 1-line block ×5, first 2 shown]
	v_fma_f64 v[56:57], v[104:105], s[34:35], -v[56:57]
	v_add_f64 v[94:95], v[72:73], v[76:77]
	v_add_f64 v[72:73], v[72:73], -v[76:77]
	v_mul_f64 v[76:77], v[92:93], s[30:31]
	v_mul_f64 v[98:99], v[74:75], s[34:35]
	v_fma_f64 v[102:103], v[40:41], s[0:1], v[42:43]
	v_fma_f64 v[112:113], v[40:41], s[36:37], v[70:71]
	;; [unrolled: 1-line block ×4, first 2 shown]
	v_add_f64 v[106:107], v[56:57], v[62:63]
	v_fma_f64 v[56:57], v[104:105], s[2:3], -v[78:79]
	v_fma_f64 v[40:41], v[40:41], s[14:15], v[42:43]
	v_fma_f64 v[42:43], v[94:95], s[34:35], v[76:77]
	;; [unrolled: 1-line block ×3, first 2 shown]
	v_add_f64 v[78:79], v[102:103], v[58:59]
	v_mul_f64 v[58:59], v[74:75], s[4:5]
	v_add_f64 v[68:69], v[70:71], v[68:69]
	v_add_f64 v[70:71], v[100:101], v[50:51]
	v_mul_f64 v[50:51], v[92:93], s[18:19]
	v_add_f64 v[100:101], v[56:57], v[44:45]
	v_add_f64 v[102:103], v[40:41], v[38:39]
	;; [unrolled: 1-line block ×4, first 2 shown]
	v_fma_f64 v[42:43], v[94:95], s[34:35], -v[76:77]
	v_fma_f64 v[44:45], v[72:73], s[30:31], v[98:99]
	v_fma_f64 v[62:63], v[72:73], s[12:13], v[58:59]
	v_mul_f64 v[76:77], v[92:93], s[24:25]
	v_fma_f64 v[58:59], v[72:73], s[18:19], v[58:59]
	v_fma_f64 v[56:57], v[94:95], s[4:5], v[50:51]
	v_fma_f64 v[50:51], v[94:95], s[4:5], -v[50:51]
	v_mul_f64 v[90:91], v[74:75], s[26:27]
	v_add_f64 v[42:43], v[42:43], v[48:49]
	v_add_f64 v[44:45], v[44:45], v[52:53]
	;; [unrolled: 1-line block ×3, first 2 shown]
	v_fma_f64 v[54:55], v[94:95], s[26:27], v[76:77]
	v_add_f64 v[52:53], v[58:59], v[66:67]
	v_fma_f64 v[58:59], v[94:95], s[26:27], -v[76:77]
	v_mul_f64 v[62:63], v[92:93], s[14:15]
	v_mul_f64 v[66:67], v[74:75], s[2:3]
	v_add_f64 v[50:51], v[50:51], v[60:61]
	v_fma_f64 v[60:61], v[72:73], s[24:25], v[90:91]
	v_mul_f64 v[76:77], v[92:93], s[16:17]
	v_mul_f64 v[74:75], v[74:75], s[20:21]
	v_add_f64 v[46:47], v[56:57], v[46:47]
	v_fma_f64 v[56:57], v[72:73], s[28:29], v[90:91]
	v_add_f64 v[86:87], v[110:111], v[86:87]
	v_add_f64 v[88:89], v[112:113], v[88:89]
	;; [unrolled: 1-line block ×4, first 2 shown]
	v_fma_f64 v[64:65], v[94:95], s[2:3], v[62:63]
	v_fma_f64 v[80:81], v[72:73], s[0:1], v[66:67]
	v_add_f64 v[60:61], v[60:61], v[84:85]
	v_fma_f64 v[84:85], v[94:95], s[20:21], v[76:77]
	v_fma_f64 v[90:91], v[72:73], s[22:23], v[74:75]
	v_fma_f64 v[76:77], v[94:95], s[20:21], -v[76:77]
	v_fma_f64 v[92:93], v[72:73], s[16:17], v[74:75]
	v_add_f64 v[56:57], v[56:57], v[82:83]
	v_fma_f64 v[82:83], v[94:95], s[2:3], -v[62:63]
	v_fma_f64 v[94:95], v[72:73], s[14:15], v[66:67]
	v_add_f64 v[62:63], v[64:65], v[86:87]
	v_add_f64 v[64:65], v[80:81], v[88:89]
	;; [unrolled: 1-line block ×8, first 2 shown]
	ds_write_b128 v163, v[34:37]
	ds_write_b128 v163, v[38:41] offset:704
	ds_write_b128 v163, v[46:49] offset:1408
	;; [unrolled: 1-line block ×10, first 2 shown]
	s_waitcnt lgkmcnt(0)
	; wave barrier
	s_waitcnt lgkmcnt(0)
	ds_read_b128 v[34:37], v163
	ds_read_b128 v[38:41], v163 offset:704
	v_mad_u64_u32 v[46:47], s[0:1], s8, v164, 0
	s_mov_b32 s2, 0x6be69c90
	s_waitcnt lgkmcnt(1)
	v_mul_f64 v[42:43], v[10:11], v[36:37]
	v_mul_f64 v[10:11], v[10:11], v[34:35]
	v_mad_u64_u32 v[44:45], s[0:1], s11, v162, v[33:34]
	s_mov_b32 s3, 0x3f60ecf5
	v_mov_b32_e32 v50, s7
	v_mov_b32_e32 v33, v44
	v_lshlrev_b64 v[32:33], 4, v[32:33]
	v_fma_f64 v[34:35], v[8:9], v[34:35], v[42:43]
	v_fma_f64 v[10:11], v[8:9], v[36:37], -v[10:11]
	v_mov_b32_e32 v8, v47
	v_mad_u64_u32 v[42:43], s[0:1], s9, v164, v[8:9]
	v_add_co_u32_e64 v51, s[0:1], s6, v32
	v_mov_b32_e32 v47, v42
	v_mul_f64 v[8:9], v[34:35], s[2:3]
	ds_read_b128 v[34:37], v163 offset:1936
	ds_read_b128 v[42:45], v163 offset:2640
	v_mul_f64 v[10:11], v[10:11], s[2:3]
	v_addc_co_u32_e64 v52, s[0:1], v50, v33, s[0:1]
	s_waitcnt lgkmcnt(1)
	v_mul_f64 v[48:49], v[6:7], v[36:37]
	v_mul_f64 v[6:7], v[6:7], v[34:35]
	v_lshlrev_b64 v[32:33], 4, v[46:47]
	v_add_co_u32_e64 v50, s[0:1], v51, v32
	v_addc_co_u32_e64 v51, s[0:1], v52, v33, s[0:1]
	v_fma_f64 v[34:35], v[4:5], v[34:35], v[48:49]
	v_fma_f64 v[36:37], v[4:5], v[36:37], -v[6:7]
	ds_read_b128 v[4:7], v163 offset:3872
	global_store_dwordx4 v[50:51], v[8:11], off
	ds_read_b128 v[46:49], v163 offset:5808
	s_mul_i32 s0, s9, 0x79
	s_mul_hi_u32 s1, s8, 0x79
	s_add_i32 s1, s1, s0
	v_mul_f64 v[8:9], v[34:35], s[2:3]
	v_mul_f64 v[10:11], v[36:37], s[2:3]
	ds_read_b128 v[32:35], v163 offset:4576
	s_waitcnt lgkmcnt(2)
	v_mul_f64 v[36:37], v[2:3], v[6:7]
	v_mul_f64 v[2:3], v[2:3], v[4:5]
	s_mul_i32 s0, s8, 0x79
	s_lshl_b64 s[4:5], s[0:1], 4
	v_mov_b32_e32 v52, s5
	v_add_co_u32_e64 v50, s[0:1], s4, v50
	v_addc_co_u32_e64 v51, s[0:1], v51, v52, s[0:1]
	v_fma_f64 v[4:5], v[0:1], v[4:5], v[36:37]
	v_fma_f64 v[6:7], v[0:1], v[6:7], -v[2:3]
	ds_read_b128 v[0:3], v163 offset:6512
	s_waitcnt lgkmcnt(2)
	v_mul_f64 v[36:37], v[14:15], v[48:49]
	v_mul_f64 v[14:15], v[14:15], v[46:47]
	global_store_dwordx4 v[50:51], v[8:11], off
	v_mul_f64 v[4:5], v[4:5], s[2:3]
	v_mul_f64 v[6:7], v[6:7], s[2:3]
	v_fma_f64 v[8:9], v[12:13], v[46:47], v[36:37]
	v_fma_f64 v[10:11], v[12:13], v[48:49], -v[14:15]
	v_mul_f64 v[12:13], v[18:19], v[40:41]
	v_mul_f64 v[14:15], v[18:19], v[38:39]
	v_add_co_u32_e64 v18, s[0:1], s4, v50
	v_addc_co_u32_e64 v19, s[0:1], v51, v52, s[0:1]
	v_mul_f64 v[8:9], v[8:9], s[2:3]
	v_mul_f64 v[10:11], v[10:11], s[2:3]
	v_fma_f64 v[12:13], v[16:17], v[38:39], v[12:13]
	v_fma_f64 v[14:15], v[16:17], v[40:41], -v[14:15]
	v_add_co_u32_e64 v16, s[0:1], s4, v18
	v_addc_co_u32_e64 v17, s[0:1], v19, v52, s[0:1]
	global_store_dwordx4 v[18:19], v[4:7], off
	global_store_dwordx4 v[16:17], v[8:11], off
	v_mul_f64 v[4:5], v[12:13], s[2:3]
	v_mul_f64 v[8:9], v[22:23], v[44:45]
	;; [unrolled: 1-line block ×4, first 2 shown]
	s_waitcnt lgkmcnt(1)
	v_mul_f64 v[12:13], v[26:27], v[34:35]
	v_mul_f64 v[14:15], v[26:27], v[32:33]
	s_mul_hi_u32 s1, s8, 0xfffffec1
	s_waitcnt lgkmcnt(0)
	v_mul_f64 v[18:19], v[30:31], v[2:3]
	s_mul_i32 s0, s9, 0xfffffec1
	v_fma_f64 v[8:9], v[20:21], v[42:43], v[8:9]
	v_fma_f64 v[10:11], v[20:21], v[44:45], -v[10:11]
	v_mul_f64 v[20:21], v[30:31], v[0:1]
	s_sub_i32 s1, s1, s8
	s_add_i32 s1, s1, s0
	s_mul_i32 s0, s8, 0xfffffec1
	s_lshl_b64 s[6:7], s[0:1], 4
	v_mov_b32_e32 v22, s7
	v_add_co_u32_e64 v16, s[0:1], s6, v16
	v_addc_co_u32_e64 v17, s[0:1], v17, v22, s[0:1]
	global_store_dwordx4 v[16:17], v[4:7], off
	v_add_co_u32_e64 v16, s[0:1], s4, v16
	v_mul_f64 v[4:5], v[8:9], s[2:3]
	v_mul_f64 v[6:7], v[10:11], s[2:3]
	v_fma_f64 v[8:9], v[24:25], v[32:33], v[12:13]
	v_fma_f64 v[10:11], v[24:25], v[34:35], -v[14:15]
	v_fma_f64 v[12:13], v[28:29], v[0:1], v[18:19]
	v_fma_f64 v[14:15], v[28:29], v[2:3], -v[20:21]
	v_addc_co_u32_e64 v17, s[0:1], v17, v52, s[0:1]
	global_store_dwordx4 v[16:17], v[4:7], off
	v_mul_f64 v[0:1], v[8:9], s[2:3]
	v_mul_f64 v[2:3], v[10:11], s[2:3]
	;; [unrolled: 1-line block ×4, first 2 shown]
	v_add_co_u32_e64 v8, s[0:1], s4, v16
	v_addc_co_u32_e64 v9, s[0:1], v17, v52, s[0:1]
	global_store_dwordx4 v[8:9], v[0:3], off
	s_nop 0
	v_add_co_u32_e64 v0, s[0:1], s4, v8
	v_addc_co_u32_e64 v1, s[0:1], v9, v52, s[0:1]
	global_store_dwordx4 v[0:1], v[4:7], off
	s_and_b64 exec, exec, vcc
	s_cbranch_execz .LBB0_15
; %bb.14:
	s_movk_i32 s0, 0x1000
	global_load_dwordx4 v[2:5], v[160:161], off offset:1408
	global_load_dwordx4 v[6:9], v[160:161], off offset:3344
	v_add_co_u32_e32 v18, vcc, s0, v160
	v_addc_co_u32_e32 v19, vcc, 0, v161, vcc
	global_load_dwordx4 v[10:13], v[18:19], off offset:1184
	global_load_dwordx4 v[14:17], v[18:19], off offset:3120
	ds_read_b128 v[18:21], v163 offset:1408
	ds_read_b128 v[22:25], v163 offset:3344
	;; [unrolled: 1-line block ×4, first 2 shown]
	v_mov_b32_e32 v35, s7
	v_add_co_u32_e32 v34, vcc, s6, v0
	v_addc_co_u32_e32 v35, vcc, v1, v35, vcc
	v_mov_b32_e32 v46, s5
	v_add_co_u32_e32 v36, vcc, s4, v34
	v_addc_co_u32_e32 v37, vcc, v35, v46, vcc
	v_add_co_u32_e32 v38, vcc, s4, v36
	v_addc_co_u32_e32 v39, vcc, v37, v46, vcc
	s_waitcnt vmcnt(3) lgkmcnt(3)
	v_mul_f64 v[0:1], v[20:21], v[4:5]
	v_mul_f64 v[4:5], v[18:19], v[4:5]
	s_waitcnt vmcnt(2) lgkmcnt(2)
	v_mul_f64 v[40:41], v[24:25], v[8:9]
	v_mul_f64 v[8:9], v[22:23], v[8:9]
	;; [unrolled: 3-line block ×4, first 2 shown]
	v_fma_f64 v[0:1], v[18:19], v[2:3], v[0:1]
	v_fma_f64 v[2:3], v[2:3], v[20:21], -v[4:5]
	v_fma_f64 v[4:5], v[22:23], v[6:7], v[40:41]
	v_fma_f64 v[6:7], v[6:7], v[24:25], -v[8:9]
	;; [unrolled: 2-line block ×4, first 2 shown]
	v_mul_f64 v[0:1], v[0:1], s[2:3]
	v_mul_f64 v[2:3], v[2:3], s[2:3]
	;; [unrolled: 1-line block ×8, first 2 shown]
	v_add_co_u32_e32 v16, vcc, s4, v38
	v_addc_co_u32_e32 v17, vcc, v39, v46, vcc
	global_store_dwordx4 v[34:35], v[0:3], off
	global_store_dwordx4 v[36:37], v[4:7], off
	;; [unrolled: 1-line block ×4, first 2 shown]
.LBB0_15:
	s_endpgm
	.section	.rodata,"a",@progbits
	.p2align	6, 0x0
	.amdhsa_kernel bluestein_single_back_len484_dim1_dp_op_CI_CI
		.amdhsa_group_segment_fixed_size 7744
		.amdhsa_private_segment_fixed_size 0
		.amdhsa_kernarg_size 104
		.amdhsa_user_sgpr_count 6
		.amdhsa_user_sgpr_private_segment_buffer 1
		.amdhsa_user_sgpr_dispatch_ptr 0
		.amdhsa_user_sgpr_queue_ptr 0
		.amdhsa_user_sgpr_kernarg_segment_ptr 1
		.amdhsa_user_sgpr_dispatch_id 0
		.amdhsa_user_sgpr_flat_scratch_init 0
		.amdhsa_user_sgpr_private_segment_size 0
		.amdhsa_uses_dynamic_stack 0
		.amdhsa_system_sgpr_private_segment_wavefront_offset 0
		.amdhsa_system_sgpr_workgroup_id_x 1
		.amdhsa_system_sgpr_workgroup_id_y 0
		.amdhsa_system_sgpr_workgroup_id_z 0
		.amdhsa_system_sgpr_workgroup_info 0
		.amdhsa_system_vgpr_workitem_id 0
		.amdhsa_next_free_vgpr 229
		.amdhsa_next_free_sgpr 42
		.amdhsa_reserve_vcc 1
		.amdhsa_reserve_flat_scratch 0
		.amdhsa_float_round_mode_32 0
		.amdhsa_float_round_mode_16_64 0
		.amdhsa_float_denorm_mode_32 3
		.amdhsa_float_denorm_mode_16_64 3
		.amdhsa_dx10_clamp 1
		.amdhsa_ieee_mode 1
		.amdhsa_fp16_overflow 0
		.amdhsa_exception_fp_ieee_invalid_op 0
		.amdhsa_exception_fp_denorm_src 0
		.amdhsa_exception_fp_ieee_div_zero 0
		.amdhsa_exception_fp_ieee_overflow 0
		.amdhsa_exception_fp_ieee_underflow 0
		.amdhsa_exception_fp_ieee_inexact 0
		.amdhsa_exception_int_div_zero 0
	.end_amdhsa_kernel
	.text
.Lfunc_end0:
	.size	bluestein_single_back_len484_dim1_dp_op_CI_CI, .Lfunc_end0-bluestein_single_back_len484_dim1_dp_op_CI_CI
                                        ; -- End function
	.section	.AMDGPU.csdata,"",@progbits
; Kernel info:
; codeLenInByte = 16544
; NumSgprs: 46
; NumVgprs: 229
; ScratchSize: 0
; MemoryBound: 0
; FloatMode: 240
; IeeeMode: 1
; LDSByteSize: 7744 bytes/workgroup (compile time only)
; SGPRBlocks: 5
; VGPRBlocks: 57
; NumSGPRsForWavesPerEU: 46
; NumVGPRsForWavesPerEU: 229
; Occupancy: 1
; WaveLimiterHint : 1
; COMPUTE_PGM_RSRC2:SCRATCH_EN: 0
; COMPUTE_PGM_RSRC2:USER_SGPR: 6
; COMPUTE_PGM_RSRC2:TRAP_HANDLER: 0
; COMPUTE_PGM_RSRC2:TGID_X_EN: 1
; COMPUTE_PGM_RSRC2:TGID_Y_EN: 0
; COMPUTE_PGM_RSRC2:TGID_Z_EN: 0
; COMPUTE_PGM_RSRC2:TIDIG_COMP_CNT: 0
	.type	__hip_cuid_419cfe2cbae56d5c,@object ; @__hip_cuid_419cfe2cbae56d5c
	.section	.bss,"aw",@nobits
	.globl	__hip_cuid_419cfe2cbae56d5c
__hip_cuid_419cfe2cbae56d5c:
	.byte	0                               ; 0x0
	.size	__hip_cuid_419cfe2cbae56d5c, 1

	.ident	"AMD clang version 19.0.0git (https://github.com/RadeonOpenCompute/llvm-project roc-6.4.0 25133 c7fe45cf4b819c5991fe208aaa96edf142730f1d)"
	.section	".note.GNU-stack","",@progbits
	.addrsig
	.addrsig_sym __hip_cuid_419cfe2cbae56d5c
	.amdgpu_metadata
---
amdhsa.kernels:
  - .args:
      - .actual_access:  read_only
        .address_space:  global
        .offset:         0
        .size:           8
        .value_kind:     global_buffer
      - .actual_access:  read_only
        .address_space:  global
        .offset:         8
        .size:           8
        .value_kind:     global_buffer
      - .actual_access:  read_only
        .address_space:  global
        .offset:         16
        .size:           8
        .value_kind:     global_buffer
      - .actual_access:  read_only
        .address_space:  global
        .offset:         24
        .size:           8
        .value_kind:     global_buffer
      - .actual_access:  read_only
        .address_space:  global
        .offset:         32
        .size:           8
        .value_kind:     global_buffer
      - .offset:         40
        .size:           8
        .value_kind:     by_value
      - .address_space:  global
        .offset:         48
        .size:           8
        .value_kind:     global_buffer
      - .address_space:  global
        .offset:         56
        .size:           8
        .value_kind:     global_buffer
      - .address_space:  global
        .offset:         64
        .size:           8
        .value_kind:     global_buffer
      - .address_space:  global
        .offset:         72
        .size:           8
        .value_kind:     global_buffer
      - .offset:         80
        .size:           4
        .value_kind:     by_value
      - .address_space:  global
        .offset:         88
        .size:           8
        .value_kind:     global_buffer
      - .address_space:  global
        .offset:         96
        .size:           8
        .value_kind:     global_buffer
    .group_segment_fixed_size: 7744
    .kernarg_segment_align: 8
    .kernarg_segment_size: 104
    .language:       OpenCL C
    .language_version:
      - 2
      - 0
    .max_flat_workgroup_size: 44
    .name:           bluestein_single_back_len484_dim1_dp_op_CI_CI
    .private_segment_fixed_size: 0
    .sgpr_count:     46
    .sgpr_spill_count: 0
    .symbol:         bluestein_single_back_len484_dim1_dp_op_CI_CI.kd
    .uniform_work_group_size: 1
    .uses_dynamic_stack: false
    .vgpr_count:     229
    .vgpr_spill_count: 0
    .wavefront_size: 64
amdhsa.target:   amdgcn-amd-amdhsa--gfx906
amdhsa.version:
  - 1
  - 2
...

	.end_amdgpu_metadata
